;; amdgpu-corpus repo=ROCm/rocFFT kind=compiled arch=gfx906 opt=O3
	.text
	.amdgcn_target "amdgcn-amd-amdhsa--gfx906"
	.amdhsa_code_object_version 6
	.protected	bluestein_single_fwd_len1122_dim1_sp_op_CI_CI ; -- Begin function bluestein_single_fwd_len1122_dim1_sp_op_CI_CI
	.globl	bluestein_single_fwd_len1122_dim1_sp_op_CI_CI
	.p2align	8
	.type	bluestein_single_fwd_len1122_dim1_sp_op_CI_CI,@function
bluestein_single_fwd_len1122_dim1_sp_op_CI_CI: ; @bluestein_single_fwd_len1122_dim1_sp_op_CI_CI
; %bb.0:
	s_load_dwordx4 s[0:3], s[4:5], 0x28
	v_mul_u32_u24_e32 v1, 0x283, v0
	v_lshrrev_b32_e32 v1, 16, v1
	v_lshl_add_u32 v74, s6, 1, v1
	v_mov_b32_e32 v75, 0
	s_waitcnt lgkmcnt(0)
	v_cmp_gt_u64_e32 vcc, s[0:1], v[74:75]
	s_and_saveexec_b64 s[0:1], vcc
	s_cbranch_execz .LBB0_23
; %bb.1:
	s_load_dwordx2 s[12:13], s[4:5], 0x0
	s_load_dwordx2 s[14:15], s[4:5], 0x38
	v_mul_lo_u16_e32 v2, 0x66, v1
	v_sub_u16_e32 v88, v0, v2
	v_and_b32_e32 v0, 1, v1
	v_mov_b32_e32 v1, 0x462
	v_cmp_eq_u32_e32 vcc, 1, v0
	v_cndmask_b32_e32 v42, 0, v1, vcc
	s_movk_i32 s0, 0x42
	v_cmp_gt_u16_e64 s[0:1], s0, v88
	v_lshlrev_b32_e32 v87, 3, v88
	v_lshlrev_b32_e32 v89, 3, v42
	s_and_saveexec_b64 s[6:7], s[0:1]
	s_cbranch_execz .LBB0_3
; %bb.2:
	s_load_dwordx2 s[8:9], s[4:5], 0x18
	s_waitcnt lgkmcnt(0)
	v_mov_b32_e32 v20, s13
	s_load_dwordx4 s[8:11], s[8:9], 0x0
	s_waitcnt lgkmcnt(0)
	v_mad_u64_u32 v[0:1], s[16:17], s10, v74, 0
	v_mad_u64_u32 v[2:3], s[16:17], s8, v88, 0
	;; [unrolled: 1-line block ×4, first 2 shown]
	v_mov_b32_e32 v1, v4
	v_lshlrev_b64 v[0:1], 3, v[0:1]
	v_mov_b32_e32 v3, v5
	v_mov_b32_e32 v6, s3
	v_lshlrev_b64 v[2:3], 3, v[2:3]
	v_add_co_u32_e32 v0, vcc, s2, v0
	v_addc_co_u32_e32 v1, vcc, v6, v1, vcc
	v_add_co_u32_e32 v0, vcc, v0, v2
	v_addc_co_u32_e32 v1, vcc, v1, v3, vcc
	s_movk_i32 s2, 0x1000
	v_add_co_u32_e32 v21, vcc, s12, v87
	v_addc_co_u32_e32 v24, vcc, 0, v20, vcc
	v_add_co_u32_e64 v22, s[2:3], s2, v21
	v_addc_co_u32_e64 v23, s[2:3], 0, v24, s[2:3]
	v_add_co_u32_e32 v20, vcc, 0x2000, v21
	s_mul_i32 s2, s9, 0x210
	s_mul_hi_u32 s3, s8, 0x210
	v_addc_co_u32_e32 v21, vcc, 0, v24, vcc
	s_mulk_i32 s8, 0x210
	s_add_i32 s2, s3, s2
	global_load_dwordx2 v[2:3], v[0:1], off
	global_load_dwordx2 v[4:5], v87, s[12:13]
	global_load_dwordx2 v[6:7], v87, s[12:13] offset:528
	global_load_dwordx2 v[8:9], v87, s[12:13] offset:1056
	;; [unrolled: 1-line block ×7, first 2 shown]
	global_load_dwordx2 v[24:25], v[22:23], off offset:128
	global_load_dwordx2 v[26:27], v[20:21], off offset:256
	v_mov_b32_e32 v20, s2
	v_add_co_u32_e32 v0, vcc, s8, v0
	v_addc_co_u32_e32 v1, vcc, v1, v20, vcc
	v_mov_b32_e32 v21, s2
	v_add_co_u32_e32 v20, vcc, s8, v0
	v_addc_co_u32_e32 v21, vcc, v1, v21, vcc
	;; [unrolled: 3-line block ×3, first 2 shown]
	v_mov_b32_e32 v36, s2
	global_load_dwordx2 v[30:31], v[0:1], off
	global_load_dwordx2 v[32:33], v[20:21], off
	global_load_dwordx2 v[34:35], v[28:29], off
	v_add_co_u32_e32 v0, vcc, s8, v28
	v_addc_co_u32_e32 v1, vcc, v29, v36, vcc
	v_mov_b32_e32 v37, s2
	global_load_dwordx2 v[20:21], v[0:1], off
	v_add_co_u32_e32 v0, vcc, s8, v0
	v_addc_co_u32_e32 v1, vcc, v1, v37, vcc
	v_mov_b32_e32 v38, s2
	global_load_dwordx2 v[28:29], v[0:1], off
	;; [unrolled: 4-line block ×5, first 2 shown]
	v_add_co_u32_e32 v0, vcc, s8, v0
	v_addc_co_u32_e32 v1, vcc, v1, v44, vcc
	global_load_dwordx2 v[45:46], v[0:1], off
	v_add_co_u32_e32 v0, vcc, s8, v0
	v_addc_co_u32_e32 v1, vcc, v1, v44, vcc
	global_load_dwordx2 v[47:48], v[0:1], off
	v_add_co_u32_e32 v0, vcc, s8, v0
	v_addc_co_u32_e32 v1, vcc, v1, v44, vcc
	global_load_dwordx2 v[49:50], v[0:1], off
	global_load_dwordx2 v[51:52], v[22:23], off offset:656
	global_load_dwordx2 v[53:54], v[22:23], off offset:1184
	;; [unrolled: 1-line block ×3, first 2 shown]
	v_add_co_u32_e32 v0, vcc, s8, v0
	v_addc_co_u32_e32 v1, vcc, v1, v44, vcc
	global_load_dwordx2 v[57:58], v[0:1], off
	global_load_dwordx2 v[59:60], v[22:23], off offset:2240
	v_add_co_u32_e32 v0, vcc, s8, v0
	v_addc_co_u32_e32 v1, vcc, v1, v44, vcc
	global_load_dwordx2 v[61:62], v[0:1], off
	v_add_co_u32_e32 v0, vcc, s8, v0
	v_addc_co_u32_e32 v1, vcc, v1, v44, vcc
	global_load_dwordx2 v[63:64], v[0:1], off
	global_load_dwordx2 v[65:66], v[22:23], off offset:2768
	global_load_dwordx2 v[67:68], v[22:23], off offset:3296
	v_add_co_u32_e32 v0, vcc, s8, v0
	v_addc_co_u32_e32 v1, vcc, v1, v44, vcc
	global_load_dwordx2 v[69:70], v[0:1], off
	global_load_dwordx2 v[71:72], v[22:23], off offset:3824
	v_mov_b32_e32 v22, s2
	v_add_co_u32_e32 v0, vcc, s8, v0
	v_addc_co_u32_e32 v1, vcc, v1, v22, vcc
	global_load_dwordx2 v[0:1], v[0:1], off
	s_waitcnt vmcnt(32)
	v_mul_f32_e32 v43, v3, v5
	v_fmac_f32_e32 v43, v2, v4
	v_mul_f32_e32 v2, v2, v5
	v_lshl_add_u32 v22, v88, 3, v89
	v_fma_f32 v44, v3, v4, -v2
	ds_write_b64 v22, v[43:44]
	s_waitcnt vmcnt(22)
	v_mul_f32_e32 v2, v31, v7
	v_mul_f32_e32 v3, v30, v7
	s_waitcnt vmcnt(21)
	v_mul_f32_e32 v4, v33, v9
	v_mul_f32_e32 v5, v32, v9
	v_fmac_f32_e32 v2, v30, v6
	v_add_u32_e32 v22, v89, v87
	v_fma_f32 v3, v31, v6, -v3
	v_fmac_f32_e32 v4, v32, v8
	v_fma_f32 v5, v33, v8, -v5
	ds_write2_b64 v22, v[2:3], v[4:5] offset0:66 offset1:132
	s_waitcnt vmcnt(20)
	v_mul_f32_e32 v2, v35, v11
	v_mul_f32_e32 v3, v34, v11
	s_waitcnt vmcnt(19)
	v_mul_f32_e32 v4, v21, v13
	v_mul_f32_e32 v5, v20, v13
	v_fmac_f32_e32 v2, v34, v10
	v_fma_f32 v3, v35, v10, -v3
	v_fmac_f32_e32 v4, v20, v12
	v_fma_f32 v5, v21, v12, -v5
	v_add_u32_e32 v6, 0x400, v22
	ds_write2_b64 v6, v[2:3], v[4:5] offset0:70 offset1:136
	s_waitcnt vmcnt(18)
	v_mul_f32_e32 v2, v29, v15
	v_mul_f32_e32 v3, v28, v15
	s_waitcnt vmcnt(17)
	v_mul_f32_e32 v4, v37, v17
	v_mul_f32_e32 v5, v36, v17
	v_fmac_f32_e32 v2, v28, v14
	v_fma_f32 v3, v29, v14, -v3
	v_fmac_f32_e32 v4, v36, v16
	v_fma_f32 v5, v37, v16, -v5
	v_add_u32_e32 v6, 0x800, v22
	;; [unrolled: 12-line block ×3, first 2 shown]
	ds_write2_b64 v6, v[2:3], v[4:5] offset0:78 offset1:144
	v_add_u32_e32 v6, 0x1000, v22
	s_waitcnt vmcnt(11)
	v_mul_f32_e32 v2, v46, v52
	v_mul_f32_e32 v3, v45, v52
	s_waitcnt vmcnt(10)
	v_mul_f32_e32 v4, v48, v54
	v_mul_f32_e32 v5, v47, v54
	v_fmac_f32_e32 v2, v45, v51
	v_fma_f32 v3, v46, v51, -v3
	v_fmac_f32_e32 v4, v47, v53
	v_fma_f32 v5, v48, v53, -v5
	ds_write2_b64 v6, v[2:3], v[4:5] offset0:82 offset1:148
	s_waitcnt vmcnt(9)
	v_mul_f32_e32 v2, v50, v56
	v_mul_f32_e32 v3, v49, v56
	s_waitcnt vmcnt(7)
	v_mul_f32_e32 v4, v58, v60
	v_mul_f32_e32 v5, v57, v60
	v_fmac_f32_e32 v2, v49, v55
	v_fma_f32 v3, v50, v55, -v3
	v_fmac_f32_e32 v4, v57, v59
	v_fma_f32 v5, v58, v59, -v5
	v_add_u32_e32 v6, 0x1400, v22
	ds_write2_b64 v6, v[2:3], v[4:5] offset0:86 offset1:152
	s_waitcnt vmcnt(4)
	v_mul_f32_e32 v2, v62, v66
	v_mul_f32_e32 v3, v61, v66
	s_waitcnt vmcnt(3)
	v_mul_f32_e32 v4, v64, v68
	v_mul_f32_e32 v5, v63, v68
	v_fmac_f32_e32 v2, v61, v65
	v_fma_f32 v3, v62, v65, -v3
	v_fmac_f32_e32 v4, v63, v67
	v_fma_f32 v5, v64, v67, -v5
	v_add_u32_e32 v6, 0x1800, v22
	ds_write2_b64 v6, v[2:3], v[4:5] offset0:90 offset1:156
	s_waitcnt vmcnt(0)
	v_mul_f32_e32 v4, v1, v27
	v_mul_f32_e32 v2, v70, v72
	;; [unrolled: 1-line block ×3, first 2 shown]
	v_fmac_f32_e32 v4, v0, v26
	v_mul_f32_e32 v0, v0, v27
	v_fmac_f32_e32 v2, v69, v71
	v_fma_f32 v3, v70, v71, -v3
	v_fma_f32 v5, v1, v26, -v0
	v_add_u32_e32 v0, 0x1c00, v22
	ds_write2_b64 v0, v[2:3], v[4:5] offset0:94 offset1:160
.LBB0_3:
	s_or_b64 exec, exec, s[6:7]
	s_load_dwordx2 s[2:3], s[4:5], 0x20
	s_load_dwordx2 s[8:9], s[4:5], 0x8
	v_mov_b32_e32 v8, 0
	v_mov_b32_e32 v9, 0
	s_waitcnt lgkmcnt(0)
	s_barrier
	s_waitcnt lgkmcnt(0)
                                        ; implicit-def: $vgpr14
                                        ; implicit-def: $vgpr16
                                        ; implicit-def: $vgpr32
                                        ; implicit-def: $vgpr36
                                        ; implicit-def: $vgpr40
                                        ; implicit-def: $vgpr30
                                        ; implicit-def: $vgpr26
                                        ; implicit-def: $vgpr22
	s_and_saveexec_b64 s[4:5], s[0:1]
	s_cbranch_execz .LBB0_5
; %bb.4:
	v_lshl_add_u32 v0, v42, 3, v87
	v_add_u32_e32 v1, 0x800, v0
	ds_read2_b64 v[8:11], v0 offset1:66
	ds_read2_b64 v[20:23], v0 offset0:132 offset1:198
	ds_read2_b64 v[24:27], v1 offset0:8 offset1:74
	;; [unrolled: 1-line block ×3, first 2 shown]
	v_add_u32_e32 v1, 0x1000, v0
	ds_read2_b64 v[12:15], v1 offset0:16 offset1:82
	ds_read2_b64 v[16:19], v1 offset0:148 offset1:214
	v_add_u32_e32 v1, 0x1800, v0
	ds_read2_b64 v[32:35], v1 offset0:24 offset1:90
	ds_read2_b64 v[36:39], v1 offset0:156 offset1:222
	ds_read_b64 v[40:41], v0 offset:8448
.LBB0_5:
	s_or_b64 exec, exec, s[4:5]
	s_waitcnt lgkmcnt(0)
	v_sub_f32_e32 v73, v11, v41
	v_mul_f32_e32 v50, 0xbeb8f4ab, v73
	v_sub_f32_e32 v80, v21, v39
	v_add_f32_e32 v43, v40, v10
	v_sub_f32_e32 v78, v10, v40
	v_mov_b32_e32 v0, v50
	v_mul_f32_e32 v55, 0xbf2c7751, v80
	v_add_f32_e32 v44, v41, v11
	s_mov_b32 s6, 0x3f6eb680
	v_mul_f32_e32 v52, 0xbeb8f4ab, v78
	v_fmac_f32_e32 v0, 0x3f6eb680, v43
	v_add_f32_e32 v45, v38, v20
	v_sub_f32_e32 v82, v20, v38
	v_mov_b32_e32 v2, v55
	v_add_f32_e32 v0, v0, v8
	v_fma_f32 v1, v44, s6, -v52
	s_mov_b32 s7, 0x3f3d2fb0
	v_add_f32_e32 v48, v39, v21
	v_mul_f32_e32 v56, 0xbf2c7751, v82
	v_fmac_f32_e32 v2, 0x3f3d2fb0, v45
	v_sub_f32_e32 v84, v23, v37
	v_add_f32_e32 v1, v1, v9
	v_add_f32_e32 v0, v2, v0
	v_fma_f32 v2, v48, s7, -v56
	v_mul_f32_e32 v59, 0xbf65296c, v84
	v_add_f32_e32 v1, v2, v1
	v_add_f32_e32 v49, v36, v22
	v_sub_f32_e32 v85, v22, v36
	v_mov_b32_e32 v2, v59
	s_mov_b32 s10, 0x3ee437d1
	v_add_f32_e32 v51, v37, v23
	v_mul_f32_e32 v60, 0xbf65296c, v85
	v_fmac_f32_e32 v2, 0x3ee437d1, v49
	v_sub_f32_e32 v93, v25, v35
	v_add_f32_e32 v0, v2, v0
	v_fma_f32 v2, v51, s10, -v60
	v_mul_f32_e32 v63, 0xbf7ee86f, v93
	v_add_f32_e32 v1, v2, v1
	v_add_f32_e32 v53, v34, v24
	v_sub_f32_e32 v103, v24, v34
	v_mov_b32_e32 v2, v63
	s_mov_b32 s16, 0x3dbcf732
	v_add_f32_e32 v54, v35, v25
	v_mul_f32_e32 v64, 0xbf7ee86f, v103
	v_fmac_f32_e32 v2, 0x3dbcf732, v53
	v_sub_f32_e32 v107, v27, v33
	;; [unrolled: 12-line block ×5, first 2 shown]
	v_add_f32_e32 v0, v2, v0
	v_fma_f32 v2, v66, s19, -v79
	v_mul_f32_e32 v81, 0xbe3c28d5, v132
	v_add_f32_e32 v1, v2, v1
	v_add_f32_e32 v68, v14, v12
	v_mov_b32_e32 v2, v81
	v_sub_f32_e32 v143, v12, v14
	s_mov_b32 s18, 0xbf7ba420
	v_fmac_f32_e32 v2, 0xbf7ba420, v68
	v_add_f32_e32 v71, v15, v13
	v_mul_f32_e32 v83, 0xbe3c28d5, v143
	v_add_f32_e32 v75, v2, v0
	v_fma_f32 v0, v71, s18, -v83
	v_mul_f32_e32 v86, 0xbf2c7751, v73
	v_add_f32_e32 v76, v0, v1
	v_mov_b32_e32 v0, v86
	v_mul_f32_e32 v91, 0xbf7ee86f, v80
	v_fmac_f32_e32 v0, 0x3f3d2fb0, v43
	v_mov_b32_e32 v1, v91
	v_add_f32_e32 v0, v0, v8
	v_fmac_f32_e32 v1, 0x3dbcf732, v45
	v_mul_f32_e32 v96, 0xbf2c7751, v78
	v_add_f32_e32 v0, v1, v0
	v_fma_f32 v1, v44, s7, -v96
	v_mul_f32_e32 v97, 0xbf7ee86f, v82
	v_add_f32_e32 v1, v1, v9
	v_fma_f32 v2, v48, s16, -v97
	v_mul_f32_e32 v92, 0xbf4c4adb, v84
	v_add_f32_e32 v1, v2, v1
	v_mov_b32_e32 v2, v92
	v_fmac_f32_e32 v2, 0xbf1a4643, v49
	v_mul_f32_e32 v99, 0xbf4c4adb, v85
	v_add_f32_e32 v0, v2, v0
	v_fma_f32 v2, v51, s17, -v99
	v_mul_f32_e32 v94, 0xbe3c28d5, v93
	v_add_f32_e32 v1, v2, v1
	v_mov_b32_e32 v2, v94
	v_fmac_f32_e32 v2, 0xbf7ba420, v53
	;; [unrolled: 7-line block ×6, first 2 shown]
	v_mul_f32_e32 v108, 0x3eb8f4ab, v143
	v_mul_f32_e32 v110, 0xbf65296c, v73
	v_fma_f32 v3, v71, s6, -v108
	v_add_f32_e32 v2, v2, v0
	v_mov_b32_e32 v0, v110
	v_mul_f32_e32 v111, 0xbf4c4adb, v80
	v_add_f32_e32 v3, v3, v1
	v_fmac_f32_e32 v0, 0x3ee437d1, v43
	v_mov_b32_e32 v1, v111
	v_add_f32_e32 v0, v0, v8
	v_fmac_f32_e32 v1, 0xbf1a4643, v45
	v_mul_f32_e32 v112, 0x3e3c28d5, v84
	v_add_f32_e32 v0, v1, v0
	v_mov_b32_e32 v1, v112
	v_fmac_f32_e32 v1, 0xbf7ba420, v49
	v_mul_f32_e32 v113, 0x3f763a35, v93
	v_add_f32_e32 v0, v1, v0
	v_mov_b32_e32 v1, v113
	;; [unrolled: 4-line block ×6, first 2 shown]
	v_fmac_f32_e32 v1, 0xbf59a7d5, v68
	v_mul_f32_e32 v120, 0xbf65296c, v78
	v_add_f32_e32 v0, v1, v0
	v_fma_f32 v1, v44, s10, -v120
	v_mul_f32_e32 v121, 0xbf4c4adb, v82
	v_add_f32_e32 v1, v1, v9
	v_fma_f32 v4, v48, s17, -v121
	;; [unrolled: 3-line block ×8, first 2 shown]
	v_mul_f32_e32 v130, 0xbf7ee86f, v73
	v_add_f32_e32 v1, v4, v1
	v_mov_b32_e32 v4, v130
	v_mul_f32_e32 v131, 0xbe3c28d5, v80
	v_fmac_f32_e32 v4, 0x3dbcf732, v43
	v_mov_b32_e32 v5, v131
	v_add_f32_e32 v4, v4, v8
	v_fmac_f32_e32 v5, 0xbf7ba420, v45
	v_mul_f32_e32 v136, 0xbf7ee86f, v78
	v_add_f32_e32 v4, v5, v4
	v_fma_f32 v5, v44, s16, -v136
	v_mul_f32_e32 v137, 0xbe3c28d5, v82
	v_add_f32_e32 v5, v5, v9
	v_fma_f32 v6, v48, s18, -v137
	v_mul_f32_e32 v133, 0x3f763a35, v84
	v_add_f32_e32 v5, v6, v5
	v_mov_b32_e32 v6, v133
	v_fmac_f32_e32 v6, 0xbe8c1d8e, v49
	v_mul_f32_e32 v139, 0x3f763a35, v85
	v_add_f32_e32 v4, v6, v4
	v_fma_f32 v6, v51, s11, -v139
	v_mul_f32_e32 v134, 0x3eb8f4ab, v93
	v_add_f32_e32 v5, v6, v5
	v_mov_b32_e32 v6, v134
	v_fmac_f32_e32 v6, 0x3f6eb680, v53
	;; [unrolled: 7-line block ×6, first 2 shown]
	v_mul_f32_e32 v147, 0x3f2c7751, v143
	v_mul_f32_e32 v148, 0xbf763a35, v73
	v_fma_f32 v7, v71, s7, -v147
	v_add_f32_e32 v6, v6, v4
	v_mov_b32_e32 v4, v148
	v_mul_f32_e32 v149, 0x3f06c442, v80
	v_add_f32_e32 v7, v7, v5
	v_fmac_f32_e32 v4, 0xbe8c1d8e, v43
	v_mov_b32_e32 v5, v149
	v_add_f32_e32 v4, v4, v8
	v_fmac_f32_e32 v5, 0xbf59a7d5, v45
	v_mul_f32_e32 v150, 0x3f2c7751, v84
	v_add_f32_e32 v4, v5, v4
	v_mov_b32_e32 v5, v150
	v_fmac_f32_e32 v5, 0x3f3d2fb0, v49
	v_mul_f32_e32 v151, 0xbf65296c, v93
	v_add_f32_e32 v4, v5, v4
	v_mov_b32_e32 v5, v151
	;; [unrolled: 4-line block ×6, first 2 shown]
	v_fmac_f32_e32 v5, 0xbf1a4643, v68
	v_mul_f32_e32 v162, 0xbf763a35, v78
	v_add_f32_e32 v4, v5, v4
	v_fma_f32 v5, v44, s11, -v162
	v_mul_f32_e32 v163, 0x3f06c442, v82
	v_add_f32_e32 v5, v5, v9
	v_fma_f32 v46, v48, s19, -v163
	;; [unrolled: 3-line block ×8, first 2 shown]
	v_mul_f32_e32 v164, 0xbf4c4adb, v73
	v_add_f32_e32 v5, v46, v5
	v_mov_b32_e32 v46, v164
	v_mul_f32_e32 v165, 0x3f763a35, v80
	v_fmac_f32_e32 v46, 0xbf1a4643, v43
	v_mov_b32_e32 v47, v165
	v_add_f32_e32 v46, v46, v8
	v_fmac_f32_e32 v47, 0xbe8c1d8e, v45
	v_mul_f32_e32 v172, 0xbf4c4adb, v78
	v_add_f32_e32 v46, v47, v46
	v_fma_f32 v47, v44, s17, -v172
	v_mul_f32_e32 v173, 0x3f763a35, v82
	v_add_f32_e32 v47, v47, v9
	v_fma_f32 v90, v48, s11, -v173
	v_mul_f32_e32 v166, 0xbeb8f4ab, v84
	v_add_f32_e32 v47, v90, v47
	v_mov_b32_e32 v90, v166
	v_fmac_f32_e32 v90, 0x3f6eb680, v49
	v_mul_f32_e32 v174, 0xbeb8f4ab, v85
	v_add_f32_e32 v46, v90, v46
	v_fma_f32 v90, v51, s6, -v174
	v_mul_f32_e32 v167, 0xbf06c442, v93
	v_add_f32_e32 v47, v90, v47
	v_mov_b32_e32 v90, v167
	v_fmac_f32_e32 v90, 0xbf59a7d5, v53
	;; [unrolled: 7-line block ×5, first 2 shown]
	v_mul_f32_e32 v178, 0xbe3c28d5, v129
	v_add_f32_e32 v46, v90, v46
	v_fma_f32 v90, v66, s18, -v178
	v_mul_f32_e32 v171, 0x3f65296c, v132
	v_add_f32_e32 v47, v90, v47
	v_mov_b32_e32 v90, v171
	v_mul_f32_e32 v179, 0x3f65296c, v143
	v_fmac_f32_e32 v90, 0x3ee437d1, v68
	v_fma_f32 v180, v71, s10, -v179
	v_add_f32_e32 v46, v90, v46
	v_add_f32_e32 v47, v180, v47
	v_mul_lo_u16_e32 v90, 17, v88
	s_barrier
	s_and_saveexec_b64 s[4:5], s[0:1]
	s_cbranch_execz .LBB0_7
; %bb.6:
	v_mul_f32_e32 v234, 0xbe3c28d5, v78
	v_mov_b32_e32 v180, v234
	v_mul_f32_e32 v235, 0x3eb8f4ab, v82
	v_fmac_f32_e32 v180, 0xbf7ba420, v44
	v_mov_b32_e32 v181, v235
	v_add_f32_e32 v180, v180, v9
	v_fmac_f32_e32 v181, 0x3f6eb680, v48
	v_mul_f32_e32 v236, 0xbf06c442, v85
	v_add_f32_e32 v180, v181, v180
	v_mov_b32_e32 v181, v236
	v_fmac_f32_e32 v181, 0xbf59a7d5, v51
	v_mul_f32_e32 v237, 0x3f2c7751, v103
	v_add_f32_e32 v180, v181, v180
	v_mov_b32_e32 v181, v237
	;; [unrolled: 4-line block ×6, first 2 shown]
	v_fmac_f32_e32 v181, 0x3dbcf732, v71
	v_mul_f32_e32 v242, 0xbe3c28d5, v73
	v_add_f32_e32 v181, v181, v180
	v_fma_f32 v180, v43, s18, -v242
	v_mul_f32_e32 v243, 0x3eb8f4ab, v80
	v_add_f32_e32 v180, v180, v8
	v_fma_f32 v244, v45, s6, -v243
	v_add_f32_e32 v180, v244, v180
	v_mul_f32_e32 v244, 0xbf06c442, v84
	v_fma_f32 v245, v49, s19, -v244
	v_add_f32_e32 v180, v245, v180
	v_mul_f32_e32 v245, 0x3f2c7751, v93
	;; [unrolled: 3-line block ×6, first 2 shown]
	v_fma_f32 v250, v68, s16, -v249
	v_mul_f32_e32 v78, 0xbf06c442, v78
	v_add_f32_e32 v180, v250, v180
	v_mov_b32_e32 v250, v78
	v_mul_f32_e32 v82, 0x3f65296c, v82
	v_fmac_f32_e32 v250, 0xbf59a7d5, v44
	v_mov_b32_e32 v251, v82
	v_add_f32_e32 v250, v250, v9
	v_fmac_f32_e32 v251, 0x3ee437d1, v48
	v_add_f32_e32 v250, v251, v250
	v_mul_f32_e32 v251, 0xbf7ee86f, v85
	v_mov_b32_e32 v85, v251
	v_fmac_f32_e32 v85, 0x3dbcf732, v51
	v_mul_f32_e32 v103, 0x3f4c4adb, v103
	v_add_f32_e32 v85, v85, v250
	v_mov_b32_e32 v250, v103
	v_fmac_f32_e32 v250, 0xbf1a4643, v54
	v_mul_f32_e32 v109, 0xbeb8f4ab, v109
	v_add_f32_e32 v85, v250, v85
	;; [unrolled: 4-line block ×5, first 2 shown]
	v_mov_b32_e32 v250, v143
	v_fmac_f32_e32 v250, 0xbe8c1d8e, v71
	v_mul_f32_e32 v73, 0xbf06c442, v73
	v_mul_f32_e32 v193, 0xbf1a4643, v44
	v_add_f32_e32 v85, v250, v85
	v_fma_f32 v250, v43, s19, -v73
	v_mul_f32_e32 v80, 0x3f65296c, v80
	v_mul_f32_e32 v205, 0xbe8c1d8e, v48
	v_add_f32_e32 v250, v250, v8
	v_fma_f32 v252, v45, s10, -v80
	v_mul_f32_e32 v254, 0xbf763a35, v132
	v_add_f32_e32 v132, v172, v193
	v_mul_f32_e32 v217, 0x3f6eb680, v51
	v_add_f32_e32 v250, v252, v250
	;; [unrolled: 2-line block ×3, first 2 shown]
	v_add_f32_e32 v132, v132, v9
	v_add_f32_e32 v10, v10, v8
	v_mul_f32_e32 v229, 0xbf59a7d5, v54
	v_fma_f32 v84, v49, s16, -v252
	v_add_f32_e32 v132, v173, v132
	v_add_f32_e32 v174, v174, v217
	;; [unrolled: 1-line block ×5, first 2 shown]
	v_mul_f32_e32 v250, 0x3f4c4adb, v93
	v_add_f32_e32 v132, v174, v132
	v_add_f32_e32 v175, v175, v229
	v_mul_f32_e32 v217, 0x3dbcf732, v58
	v_add_f32_e32 v11, v21, v11
	v_add_f32_e32 v10, v22, v10
	v_fma_f32 v93, v53, s17, -v250
	v_mul_f32_e32 v107, 0xbeb8f4ab, v107
	v_add_f32_e32 v132, v175, v132
	v_add_f32_e32 v176, v176, v217
	;; [unrolled: 1-line block ×4, first 2 shown]
	v_mul_f32_e32 v186, 0x3ee437d1, v43
	v_mul_f32_e32 v192, 0xbf1a4643, v43
	v_add_f32_e32 v84, v93, v84
	v_fma_f32 v93, v57, s6, -v107
	v_mul_f32_e32 v253, 0xbe3c28d5, v115
	v_add_f32_e32 v132, v176, v132
	v_mul_f32_e32 v176, 0x3f3d2fb0, v62
	v_add_f32_e32 v11, v25, v11
	v_add_f32_e32 v10, v26, v10
	v_mul_f32_e32 v183, 0x3f6eb680, v44
	v_mul_f32_e32 v198, 0xbf1a4643, v45
	;; [unrolled: 1-line block ×3, first 2 shown]
	v_add_f32_e32 v84, v93, v84
	v_fma_f32 v93, v61, s18, -v253
	v_mul_f32_e32 v123, 0x3f2c7751, v123
	v_add_f32_e32 v176, v177, v176
	v_sub_f32_e32 v164, v192, v164
	v_sub_f32_e32 v110, v186, v110
	v_add_f32_e32 v11, v27, v11
	v_add_f32_e32 v10, v28, v10
	v_mul_f32_e32 v191, 0xbe8c1d8e, v44
	v_mul_f32_e32 v195, 0x3f3d2fb0, v48
	;; [unrolled: 1-line block ×4, first 2 shown]
	v_add_f32_e32 v84, v93, v84
	v_fma_f32 v93, v65, s7, -v123
	v_add_f32_e32 v132, v176, v132
	v_mul_f32_e32 v176, 0xbf7ba420, v66
	v_sub_f32_e32 v165, v204, v165
	v_add_f32_e32 v164, v164, v8
	v_add_f32_e32 v110, v110, v8
	v_sub_f32_e32 v111, v198, v111
	v_add_f32_e32 v52, v52, v183
	v_add_f32_e32 v11, v29, v11
	;; [unrolled: 1-line block ×3, first 2 shown]
	v_mul_f32_e32 v203, 0xbf59a7d5, v48
	v_mul_f32_e32 v207, 0x3ee437d1, v51
	;; [unrolled: 1-line block ×4, first 2 shown]
	v_add_f32_e32 v84, v93, v84
	v_fma_f32 v93, v68, s11, -v254
	v_add_f32_e32 v176, v178, v176
	v_add_f32_e32 v164, v165, v164
	v_sub_f32_e32 v165, v216, v166
	v_add_f32_e32 v162, v162, v191
	v_add_f32_e32 v110, v111, v110
	v_sub_f32_e32 v111, v210, v112
	v_add_f32_e32 v52, v52, v9
	v_add_f32_e32 v56, v56, v195
	;; [unrolled: 1-line block ×4, first 2 shown]
	v_fma_f32 v12, v44, s18, -v234
	v_mul_f32_e32 v215, 0x3f3d2fb0, v51
	v_mul_f32_e32 v219, 0x3dbcf732, v54
	v_add_f32_e32 v84, v93, v84
	v_mul_f32_e32 v93, 0x3f3d2fb0, v57
	v_mul_f32_e32 v174, 0x3dbcf732, v57
	v_add_f32_e32 v132, v176, v132
	v_mul_f32_e32 v176, 0x3ee437d1, v71
	v_add_f32_e32 v164, v165, v164
	v_sub_f32_e32 v165, v228, v167
	v_add_f32_e32 v163, v163, v203
	v_add_f32_e32 v162, v162, v9
	;; [unrolled: 1-line block ×3, first 2 shown]
	v_sub_f32_e32 v111, v222, v113
	v_add_f32_e32 v52, v56, v52
	v_add_f32_e32 v56, v60, v207
	;; [unrolled: 1-line block ×4, first 2 shown]
	v_fma_f32 v13, v48, s6, -v235
	v_mul_f32_e32 v227, 0x3ee437d1, v54
	v_mul_f32_e32 v231, 0xbe8c1d8e, v58
	v_add_f32_e32 v176, v179, v176
	v_mul_f32_e32 v179, 0x3f6eb680, v61
	v_mul_f32_e32 v167, 0x3f3d2fb0, v61
	v_add_f32_e32 v164, v165, v164
	v_sub_f32_e32 v165, v174, v168
	v_add_f32_e32 v162, v163, v162
	v_add_f32_e32 v161, v161, v215
	;; [unrolled: 1-line block ×3, first 2 shown]
	v_sub_f32_e32 v93, v93, v114
	v_add_f32_e32 v52, v56, v52
	v_add_f32_e32 v56, v64, v219
	;; [unrolled: 1-line block ×3, first 2 shown]
	v_fma_f32 v13, v51, s19, -v236
	v_mul_f32_e32 v217, 0xbf1a4643, v62
	v_add_f32_e32 v164, v165, v164
	v_sub_f32_e32 v165, v167, v169
	v_mul_f32_e32 v169, 0x3dbcf732, v65
	v_add_f32_e32 v161, v161, v162
	v_add_f32_e32 v160, v160, v227
	;; [unrolled: 1-line block ×3, first 2 shown]
	v_sub_f32_e32 v110, v179, v116
	v_add_f32_e32 v52, v56, v52
	v_add_f32_e32 v56, v69, v231
	v_add_f32_e32 v12, v13, v12
	v_fma_f32 v13, v54, s7, -v237
	v_mul_f32_e32 v168, 0xbf59a7d5, v66
	v_add_f32_e32 v160, v160, v161
	v_mul_f32_e32 v161, 0xbf59a7d5, v68
	v_add_f32_e32 v93, v110, v93
	v_sub_f32_e32 v110, v169, v117
	v_add_f32_e32 v52, v56, v52
	v_add_f32_e32 v56, v72, v217
	;; [unrolled: 1-line block ×3, first 2 shown]
	v_fma_f32 v13, v58, s17, -v238
	v_mul_f32_e32 v182, 0x3f6eb680, v43
	v_mul_f32_e32 v185, 0x3f3d2fb0, v44
	;; [unrolled: 1-line block ×5, first 2 shown]
	v_add_f32_e32 v93, v110, v93
	v_sub_f32_e32 v110, v161, v118
	v_add_f32_e32 v52, v56, v52
	v_add_f32_e32 v56, v79, v168
	;; [unrolled: 1-line block ×3, first 2 shown]
	v_fma_f32 v13, v62, s10, -v239
	v_mul_f32_e32 v184, 0x3f3d2fb0, v43
	v_mul_f32_e32 v188, 0x3dbcf732, v43
	;; [unrolled: 1-line block ×4, first 2 shown]
	v_add_f32_e32 v136, v136, v189
	v_add_f32_e32 v120, v120, v187
	;; [unrolled: 1-line block ×6, first 2 shown]
	v_sub_f32_e32 v50, v182, v50
	v_add_f32_e32 v10, v14, v10
	v_add_f32_e32 v12, v13, v12
	v_fma_f32 v13, v66, s11, -v240
	v_fma_f32 v14, v44, s19, -v78
	v_mul_f32_e32 v196, 0x3dbcf732, v45
	v_mul_f32_e32 v197, 0x3dbcf732, v48
	;; [unrolled: 1-line block ×7, first 2 shown]
	v_sub_f32_e32 v148, v190, v148
	v_add_f32_e32 v136, v136, v9
	v_sub_f32_e32 v130, v188, v130
	v_add_f32_e32 v120, v120, v9
	v_add_f32_e32 v93, v93, v9
	v_sub_f32_e32 v86, v184, v86
	v_add_f32_e32 v56, v56, v52
	;; [unrolled: 3-line block ×3, first 2 shown]
	v_add_f32_e32 v12, v13, v12
	v_fma_f32 v13, v71, s16, -v241
	v_fmac_f32_e32 v242, 0xbf7ba420, v43
	v_add_f32_e32 v9, v14, v9
	v_fma_f32 v14, v48, s10, -v82
	v_fmac_f32_e32 v73, 0xbf59a7d5, v43
	v_mul_f32_e32 v208, 0xbf1a4643, v49
	v_mul_f32_e32 v209, 0xbf1a4643, v51
	;; [unrolled: 1-line block ×7, first 2 shown]
	v_add_f32_e32 v164, v165, v164
	v_mul_f32_e32 v165, 0xbf7ba420, v65
	v_add_f32_e32 v148, v148, v8
	v_sub_f32_e32 v149, v202, v149
	v_add_f32_e32 v137, v137, v201
	v_add_f32_e32 v130, v130, v8
	v_sub_f32_e32 v131, v200, v131
	v_add_f32_e32 v121, v121, v199
	v_add_f32_e32 v96, v97, v197
	;; [unrolled: 1-line block ×3, first 2 shown]
	v_sub_f32_e32 v91, v196, v91
	v_add_f32_e32 v50, v52, v50
	v_sub_f32_e32 v52, v206, v59
	v_add_f32_e32 v11, v17, v11
	v_add_f32_e32 v10, v16, v10
	;; [unrolled: 1-line block ×4, first 2 shown]
	v_fmac_f32_e32 v243, 0x3f6eb680, v45
	v_add_f32_e32 v9, v14, v9
	v_fma_f32 v14, v51, s16, -v251
	v_add_f32_e32 v8, v73, v8
	v_fmac_f32_e32 v80, 0x3ee437d1, v45
	v_mul_f32_e32 v220, 0xbf7ba420, v53
	v_mul_f32_e32 v221, 0xbf7ba420, v54
	;; [unrolled: 1-line block ×7, first 2 shown]
	v_sub_f32_e32 v165, v165, v170
	v_add_f32_e32 v148, v149, v148
	v_sub_f32_e32 v149, v214, v150
	v_add_f32_e32 v136, v137, v136
	v_add_f32_e32 v137, v139, v213
	;; [unrolled: 1-line block ×3, first 2 shown]
	v_sub_f32_e32 v131, v212, v133
	v_add_f32_e32 v120, v121, v120
	v_add_f32_e32 v121, v122, v211
	;; [unrolled: 1-line block ×5, first 2 shown]
	v_sub_f32_e32 v91, v208, v92
	v_add_f32_e32 v50, v52, v50
	v_sub_f32_e32 v52, v218, v63
	v_add_f32_e32 v11, v19, v11
	v_add_f32_e32 v10, v18, v10
	;; [unrolled: 1-line block ×3, first 2 shown]
	v_fmac_f32_e32 v244, 0xbf59a7d5, v49
	v_add_f32_e32 v9, v14, v9
	v_fma_f32 v14, v54, s17, -v103
	v_add_f32_e32 v8, v80, v8
	v_fmac_f32_e32 v252, 0x3dbcf732, v49
	v_mul_f32_e32 v232, 0xbf59a7d5, v57
	v_mul_f32_e32 v233, 0xbf59a7d5, v58
	;; [unrolled: 1-line block ×8, first 2 shown]
	v_add_f32_e32 v164, v165, v164
	v_mul_f32_e32 v165, 0x3ee437d1, v68
	v_add_f32_e32 v148, v149, v148
	v_sub_f32_e32 v149, v226, v151
	v_add_f32_e32 v136, v137, v136
	v_add_f32_e32 v137, v141, v225
	;; [unrolled: 1-line block ×3, first 2 shown]
	v_sub_f32_e32 v131, v224, v134
	v_add_f32_e32 v120, v121, v120
	v_add_f32_e32 v121, v124, v223
	;; [unrolled: 1-line block ×5, first 2 shown]
	v_sub_f32_e32 v91, v220, v94
	v_add_f32_e32 v50, v52, v50
	v_sub_f32_e32 v52, v230, v67
	v_add_f32_e32 v11, v33, v11
	v_add_f32_e32 v10, v32, v10
	;; [unrolled: 1-line block ×3, first 2 shown]
	v_fmac_f32_e32 v245, 0x3f3d2fb0, v53
	v_add_f32_e32 v9, v14, v9
	v_fma_f32 v14, v58, s6, -v109
	v_add_f32_e32 v8, v252, v8
	v_fmac_f32_e32 v250, 0xbf1a4643, v53
	v_mul_f32_e32 v177, 0xbe8c1d8e, v61
	v_mul_f32_e32 v178, 0xbe8c1d8e, v62
	;; [unrolled: 1-line block ×8, first 2 shown]
	v_sub_f32_e32 v170, v165, v171
	v_add_f32_e32 v159, v159, v205
	v_add_f32_e32 v148, v149, v148
	v_sub_f32_e32 v149, v173, v152
	v_add_f32_e32 v136, v137, v136
	v_add_f32_e32 v137, v144, v193
	;; [unrolled: 1-line block ×3, first 2 shown]
	v_sub_f32_e32 v131, v172, v135
	v_add_f32_e32 v120, v121, v120
	v_add_f32_e32 v115, v125, v115
	;; [unrolled: 1-line block ×5, first 2 shown]
	v_sub_f32_e32 v91, v232, v95
	v_add_f32_e32 v50, v52, v50
	v_sub_f32_e32 v52, v175, v70
	v_add_f32_e32 v11, v35, v11
	v_add_f32_e32 v10, v34, v10
	;; [unrolled: 1-line block ×3, first 2 shown]
	v_fmac_f32_e32 v246, 0xbf1a4643, v57
	v_add_f32_e32 v9, v14, v9
	v_fma_f32 v14, v62, s18, -v119
	v_add_f32_e32 v8, v250, v8
	v_fmac_f32_e32 v107, 0x3f6eb680, v57
	v_mul_f32_e32 v174, 0x3ee437d1, v65
	v_mul_f32_e32 v167, 0x3ee437d1, v66
	;; [unrolled: 1-line block ×3, first 2 shown]
	v_add_f32_e32 v165, v176, v132
	v_add_f32_e32 v164, v170, v164
	v_mul_f32_e32 v170, 0xbf1a4643, v65
	v_mul_f32_e32 v132, 0xbf1a4643, v66
	;; [unrolled: 1-line block ×5, first 2 shown]
	v_add_f32_e32 v159, v159, v160
	v_add_f32_e32 v158, v158, v216
	;; [unrolled: 1-line block ×3, first 2 shown]
	v_sub_f32_e32 v149, v166, v153
	v_add_f32_e32 v136, v137, v136
	v_add_f32_e32 v137, v145, v229
	;; [unrolled: 1-line block ×3, first 2 shown]
	v_sub_f32_e32 v131, v204, v138
	v_add_f32_e32 v115, v115, v120
	v_add_f32_e32 v120, v126, v192
	;; [unrolled: 1-line block ×5, first 2 shown]
	v_sub_f32_e32 v91, v177, v98
	v_add_f32_e32 v50, v52, v50
	v_sub_f32_e32 v52, v228, v77
	v_add_f32_e32 v11, v37, v11
	v_add_f32_e32 v10, v36, v10
	;; [unrolled: 1-line block ×3, first 2 shown]
	v_fmac_f32_e32 v247, 0x3ee437d1, v61
	v_add_f32_e32 v9, v14, v9
	v_fma_f32 v14, v66, s7, -v129
	v_add_f32_e32 v8, v107, v8
	v_fmac_f32_e32 v253, 0xbf7ba420, v61
	v_mul_f32_e32 v162, 0x3f6eb680, v68
	v_mul_f32_e32 v215, 0x3f6eb680, v71
	;; [unrolled: 1-line block ×5, first 2 shown]
	v_add_f32_e32 v158, v158, v159
	v_mul_f32_e32 v159, 0xbf1a4643, v68
	v_add_f32_e32 v156, v156, v191
	v_mul_f32_e32 v191, 0xbf1a4643, v71
	v_add_f32_e32 v148, v149, v148
	v_sub_f32_e32 v149, v176, v154
	v_add_f32_e32 v136, v137, v136
	v_add_f32_e32 v132, v146, v132
	;; [unrolled: 1-line block ×3, first 2 shown]
	v_sub_f32_e32 v131, v170, v140
	v_add_f32_e32 v115, v120, v115
	v_add_f32_e32 v120, v127, v171
	;; [unrolled: 1-line block ×5, first 2 shown]
	v_sub_f32_e32 v91, v174, v100
	v_add_f32_e32 v50, v52, v50
	v_sub_f32_e32 v52, v163, v81
	v_add_f32_e32 v11, v39, v11
	v_add_f32_e32 v10, v38, v10
	;; [unrolled: 1-line block ×3, first 2 shown]
	v_fmac_f32_e32 v248, 0xbe8c1d8e, v65
	v_add_f32_e32 v9, v14, v9
	v_fma_f32 v14, v71, s11, -v143
	v_add_f32_e32 v8, v253, v8
	v_fmac_f32_e32 v123, 0x3f3d2fb0, v65
	v_add_f32_e32 v156, v156, v158
	v_add_f32_e32 v157, v157, v191
	;; [unrolled: 1-line block ×3, first 2 shown]
	v_sub_f32_e32 v149, v159, v155
	v_add_f32_e32 v132, v132, v136
	v_add_f32_e32 v136, v147, v216
	;; [unrolled: 1-line block ×3, first 2 shown]
	v_sub_f32_e32 v131, v160, v142
	v_add_f32_e32 v115, v120, v115
	v_add_f32_e32 v120, v128, v205
	;; [unrolled: 1-line block ×5, first 2 shown]
	v_sub_f32_e32 v91, v162, v102
	v_add_f32_e32 v55, v52, v50
	v_add_f32_e32 v11, v41, v11
	v_add_f32_e32 v10, v40, v10
	v_add_f32_e32 v12, v248, v12
	v_fmac_f32_e32 v249, 0x3dbcf732, v68
	v_add_f32_e32 v9, v14, v9
	v_add_f32_e32 v8, v123, v8
	v_fmac_f32_e32 v254, 0xbe8c1d8e, v68
	v_add_lshl_u32 v14, v42, v90, 3
	v_add_f32_e32 v156, v157, v156
	v_add_f32_e32 v155, v149, v148
	;; [unrolled: 1-line block ×9, first 2 shown]
	ds_write2_b64 v14, v[10:11], v[55:56] offset1:1
	ds_write2_b64 v14, v[92:93], v[114:115] offset0:2 offset1:3
	ds_write2_b64 v14, v[131:132], v[155:156] offset0:4 offset1:5
	;; [unrolled: 1-line block ×7, first 2 shown]
	ds_write_b64 v14, v[75:76] offset:128
.LBB0_7:
	s_or_b64 exec, exec, s[4:5]
	s_load_dwordx4 s[4:7], s[2:3], 0x0
	s_movk_i32 s2, 0xf1
	v_mul_lo_u16_sdwa v8, v88, s2 dst_sel:DWORD dst_unused:UNUSED_PAD src0_sel:BYTE_0 src1_sel:DWORD
	v_lshrrev_b16_e32 v43, 12, v8
	v_mul_lo_u16_e32 v8, 17, v43
	v_sub_u16_e32 v56, v88, v8
	v_mov_b32_e32 v8, 10
	v_mul_u32_u24_sdwa v8, v56, v8 dst_sel:DWORD dst_unused:UNUSED_PAD src0_sel:BYTE_0 src1_sel:DWORD
	v_lshlrev_b32_e32 v12, 3, v8
	s_waitcnt lgkmcnt(0)
	s_barrier
	global_load_dwordx4 v[28:31], v12, s[8:9]
	global_load_dwordx4 v[24:27], v12, s[8:9] offset:16
	global_load_dwordx4 v[20:23], v12, s[8:9] offset:32
	;; [unrolled: 1-line block ×4, first 2 shown]
	v_add_lshl_u32 v91, v42, v88, 3
	ds_read2_b64 v[12:15], v91 offset1:102
	v_add_u32_e32 v16, 0x400, v91
	v_add_u32_e32 v36, 0x800, v91
	;; [unrolled: 1-line block ×4, first 2 shown]
	ds_read_b64 v[40:41], v91 offset:8160
	ds_read2_b64 v[16:19], v16 offset0:76 offset1:178
	ds_read2_b64 v[36:39], v36 offset0:152 offset1:254
	;; [unrolled: 1-line block ×4, first 2 shown]
	s_mov_b32 s2, 0x3f575c64
	s_mov_b32 s3, 0x3ed4b147
	;; [unrolled: 1-line block ×5, first 2 shown]
	s_waitcnt vmcnt(0) lgkmcnt(0)
	s_barrier
	v_mul_f32_e32 v44, v15, v29
	v_mul_f32_e32 v45, v14, v29
	;; [unrolled: 1-line block ×6, first 2 shown]
	v_fma_f32 v14, v14, v28, -v44
	v_fmac_f32_e32 v45, v15, v28
	v_mul_f32_e32 v59, v19, v25
	v_mul_f32_e32 v60, v18, v25
	;; [unrolled: 1-line block ×3, first 2 shown]
	v_fma_f32 v16, v16, v30, -v57
	v_fmac_f32_e32 v58, v17, v30
	v_fma_f32 v15, v40, v34, -v73
	v_fmac_f32_e32 v77, v41, v34
	v_add_f32_e32 v40, v12, v14
	v_add_f32_e32 v41, v13, v45
	v_mul_f32_e32 v61, v37, v27
	v_mul_f32_e32 v62, v36, v27
	v_mul_f32_e32 v65, v49, v23
	v_fma_f32 v17, v18, v24, -v59
	v_fmac_f32_e32 v60, v19, v24
	v_fmac_f32_e32 v66, v49, v22
	v_add_f32_e32 v44, v14, v15
	v_sub_f32_e32 v49, v14, v15
	v_add_f32_e32 v14, v40, v16
	v_add_f32_e32 v40, v41, v58
	v_mul_f32_e32 v63, v39, v21
	v_mul_f32_e32 v64, v38, v21
	v_fma_f32 v18, v36, v26, -v61
	v_fmac_f32_e32 v62, v37, v26
	v_add_f32_e32 v14, v14, v17
	v_add_f32_e32 v40, v40, v60
	v_fma_f32 v19, v38, v20, -v63
	v_fmac_f32_e32 v64, v39, v20
	v_add_f32_e32 v14, v14, v18
	v_add_f32_e32 v40, v40, v62
	v_mul_f32_e32 v67, v51, v9
	v_mul_f32_e32 v68, v50, v9
	v_fma_f32 v36, v48, v22, -v65
	v_add_f32_e32 v14, v14, v19
	v_add_f32_e32 v40, v40, v64
	v_mul_f32_e32 v69, v53, v11
	v_mul_f32_e32 v70, v52, v11
	v_fma_f32 v37, v50, v8, -v67
	v_fmac_f32_e32 v68, v51, v8
	v_add_f32_e32 v14, v14, v36
	v_add_f32_e32 v40, v40, v66
	v_mul_f32_e32 v71, v55, v33
	v_mul_f32_e32 v72, v54, v33
	v_fma_f32 v38, v52, v10, -v69
	v_fmac_f32_e32 v70, v53, v10
	v_mul_f32_e32 v50, 0xbf0a6770, v49
	v_add_f32_e32 v14, v14, v37
	v_add_f32_e32 v40, v40, v68
	v_fma_f32 v39, v54, v32, -v71
	v_fmac_f32_e32 v72, v55, v32
	v_add_f32_e32 v48, v45, v77
	v_mov_b32_e32 v52, v50
	v_add_f32_e32 v14, v14, v38
	v_add_f32_e32 v40, v40, v70
	v_sub_f32_e32 v45, v45, v77
	v_fmac_f32_e32 v52, 0x3f575c64, v48
	v_add_f32_e32 v14, v14, v39
	v_add_f32_e32 v40, v40, v72
	v_mul_f32_e32 v54, 0xbf68dda4, v49
	v_mul_f32_e32 v61, 0xbf7d64f0, v49
	;; [unrolled: 1-line block ×5, first 2 shown]
	v_add_f32_e32 v14, v14, v15
	v_add_f32_e32 v15, v40, v77
	;; [unrolled: 1-line block ×3, first 2 shown]
	v_mul_f32_e32 v52, 0xbf68dda4, v45
	v_mov_b32_e32 v55, v54
	v_mul_f32_e32 v57, 0xbf7d64f0, v45
	v_mov_b32_e32 v63, v61
	;; [unrolled: 2-line block ×4, first 2 shown]
	v_fma_f32 v51, v44, s2, -v41
	v_fmac_f32_e32 v41, 0x3f575c64, v44
	v_fma_f32 v50, v48, s2, -v50
	v_fma_f32 v53, v44, s3, -v52
	v_fmac_f32_e32 v55, 0x3ed4b147, v48
	v_fmac_f32_e32 v52, 0x3ed4b147, v44
	v_fma_f32 v54, v48, s3, -v54
	v_fma_f32 v59, v44, s10, -v57
	v_fmac_f32_e32 v63, 0xbe11bafb, v48
	;; [unrolled: 4-line block ×4, first 2 shown]
	v_fmac_f32_e32 v45, 0xbf75a155, v44
	v_fma_f32 v44, v48, s16, -v49
	v_add_f32_e32 v50, v13, v50
	v_add_f32_e32 v55, v13, v55
	;; [unrolled: 1-line block ×10, first 2 shown]
	v_sub_f32_e32 v16, v16, v39
	v_sub_f32_e32 v39, v58, v72
	v_mul_f32_e32 v48, 0xbf68dda4, v39
	v_add_f32_e32 v51, v12, v51
	v_fma_f32 v49, v44, s3, -v48
	v_add_f32_e32 v41, v12, v41
	v_add_f32_e32 v53, v12, v53
	v_add_f32_e32 v52, v12, v52
	v_add_f32_e32 v59, v12, v59
	v_add_f32_e32 v57, v12, v57
	v_add_f32_e32 v67, v12, v67
	v_add_f32_e32 v65, v12, v65
	v_add_f32_e32 v73, v12, v73
	v_add_f32_e32 v12, v12, v45
	v_add_f32_e32 v45, v58, v72
	v_add_f32_e32 v49, v49, v51
	v_mul_f32_e32 v51, 0xbf68dda4, v16
	v_fmac_f32_e32 v48, 0x3ed4b147, v44
	v_add_f32_e32 v41, v48, v41
	v_fma_f32 v48, v45, s3, -v51
	v_add_f32_e32 v48, v48, v50
	v_mul_f32_e32 v50, 0xbf4178ce, v39
	v_mov_b32_e32 v58, v51
	v_fma_f32 v51, v44, s11, -v50
	v_fmac_f32_e32 v58, 0x3ed4b147, v45
	v_add_f32_e32 v51, v51, v53
	v_mul_f32_e32 v53, 0xbf4178ce, v16
	v_add_f32_e32 v40, v58, v40
	v_mov_b32_e32 v58, v53
	v_fmac_f32_e32 v50, 0xbf27a4f4, v44
	v_fmac_f32_e32 v58, 0xbf27a4f4, v45
	v_add_f32_e32 v50, v50, v52
	v_fma_f32 v52, v45, s11, -v53
	v_mul_f32_e32 v53, 0x3e903f40, v39
	v_add_f32_e32 v55, v58, v55
	v_add_f32_e32 v52, v52, v54
	v_fma_f32 v54, v44, s16, -v53
	v_mul_f32_e32 v58, 0x3e903f40, v16
	v_add_f32_e32 v54, v54, v59
	v_mov_b32_e32 v59, v58
	v_fmac_f32_e32 v53, 0xbf75a155, v44
	v_fmac_f32_e32 v59, 0xbf75a155, v45
	v_add_f32_e32 v53, v53, v57
	v_fma_f32 v57, v45, s16, -v58
	v_mul_f32_e32 v58, 0x3f7d64f0, v39
	v_add_f32_e32 v59, v59, v63
	v_add_f32_e32 v57, v57, v61
	v_fma_f32 v61, v44, s10, -v58
	v_mul_f32_e32 v63, 0x3f7d64f0, v16
	v_add_f32_e32 v61, v61, v67
	v_mov_b32_e32 v67, v63
	v_fma_f32 v63, v45, s10, -v63
	v_mul_f32_e32 v16, 0x3f0a6770, v16
	v_add_f32_e32 v63, v63, v69
	v_mov_b32_e32 v69, v16
	v_fma_f32 v16, v45, s2, -v16
	v_fmac_f32_e32 v58, 0xbe11bafb, v44
	v_mul_f32_e32 v39, 0x3f0a6770, v39
	v_add_f32_e32 v13, v16, v13
	v_add_f32_e32 v16, v17, v38
	v_sub_f32_e32 v17, v17, v38
	v_sub_f32_e32 v38, v60, v70
	v_add_f32_e32 v58, v58, v65
	v_fma_f32 v65, v44, s2, -v39
	v_fmac_f32_e32 v39, 0x3f575c64, v44
	v_mul_f32_e32 v44, 0xbf7d64f0, v38
	v_fmac_f32_e32 v67, 0xbe11bafb, v45
	v_fmac_f32_e32 v69, 0x3f575c64, v45
	v_fma_f32 v45, v16, s10, -v44
	v_add_f32_e32 v12, v39, v12
	v_add_f32_e32 v39, v60, v70
	;; [unrolled: 1-line block ×3, first 2 shown]
	v_mul_f32_e32 v49, 0xbf7d64f0, v17
	v_fmac_f32_e32 v44, 0xbe11bafb, v16
	v_add_f32_e32 v41, v44, v41
	v_fma_f32 v44, v39, s10, -v49
	v_add_f32_e32 v44, v44, v48
	v_mul_f32_e32 v48, 0x3e903f40, v38
	v_mov_b32_e32 v60, v49
	v_fma_f32 v49, v16, s16, -v48
	v_fmac_f32_e32 v60, 0xbe11bafb, v39
	v_add_f32_e32 v49, v49, v51
	v_mul_f32_e32 v51, 0x3e903f40, v17
	v_fmac_f32_e32 v48, 0xbf75a155, v16
	v_add_f32_e32 v40, v60, v40
	v_mov_b32_e32 v60, v51
	v_add_f32_e32 v48, v48, v50
	v_fma_f32 v50, v39, s16, -v51
	v_mul_f32_e32 v51, 0x3f68dda4, v38
	v_add_f32_e32 v50, v50, v52
	v_fma_f32 v52, v16, s3, -v51
	v_fmac_f32_e32 v60, 0xbf75a155, v39
	v_add_f32_e32 v52, v52, v54
	v_mul_f32_e32 v54, 0x3f68dda4, v17
	v_add_f32_e32 v55, v60, v55
	v_mov_b32_e32 v60, v54
	v_fmac_f32_e32 v51, 0x3ed4b147, v16
	v_fmac_f32_e32 v60, 0x3ed4b147, v39
	v_add_f32_e32 v51, v51, v53
	v_fma_f32 v53, v39, s3, -v54
	v_mul_f32_e32 v54, 0xbf0a6770, v38
	v_add_f32_e32 v59, v60, v59
	v_add_f32_e32 v53, v53, v57
	v_fma_f32 v57, v16, s2, -v54
	v_mul_f32_e32 v60, 0xbf0a6770, v17
	v_fmac_f32_e32 v54, 0x3f575c64, v16
	v_mul_f32_e32 v38, 0xbf4178ce, v38
	v_mul_f32_e32 v17, 0xbf4178ce, v17
	v_add_f32_e32 v57, v57, v61
	v_mov_b32_e32 v61, v60
	v_add_f32_e32 v54, v54, v58
	v_fma_f32 v58, v39, s2, -v60
	v_fma_f32 v60, v16, s11, -v38
	v_fmac_f32_e32 v38, 0xbf27a4f4, v16
	v_fma_f32 v16, v39, s11, -v17
	v_add_f32_e32 v13, v16, v13
	v_add_f32_e32 v16, v18, v37
	v_sub_f32_e32 v18, v18, v37
	v_sub_f32_e32 v37, v62, v68
	v_add_f32_e32 v58, v58, v63
	v_mov_b32_e32 v63, v17
	v_add_f32_e32 v12, v38, v12
	v_mul_f32_e32 v38, 0xbf4178ce, v37
	v_fmac_f32_e32 v61, 0x3f575c64, v39
	v_fmac_f32_e32 v63, 0xbf27a4f4, v39
	v_fma_f32 v39, v16, s11, -v38
	v_add_f32_e32 v17, v62, v68
	v_add_f32_e32 v39, v39, v45
	v_mul_f32_e32 v45, 0xbf4178ce, v18
	v_fmac_f32_e32 v38, 0xbf27a4f4, v16
	v_add_f32_e32 v38, v38, v41
	v_fma_f32 v41, v17, s11, -v45
	v_add_f32_e32 v41, v41, v44
	v_mul_f32_e32 v44, 0x3f7d64f0, v37
	v_mov_b32_e32 v62, v45
	v_fma_f32 v45, v16, s10, -v44
	v_fmac_f32_e32 v62, 0xbf27a4f4, v17
	v_add_f32_e32 v49, v45, v49
	v_mul_f32_e32 v45, 0x3f7d64f0, v18
	v_add_f32_e32 v40, v62, v40
	v_mov_b32_e32 v62, v45
	v_fmac_f32_e32 v44, 0xbe11bafb, v16
	v_fmac_f32_e32 v62, 0xbe11bafb, v17
	v_add_f32_e32 v48, v44, v48
	v_fma_f32 v44, v17, s10, -v45
	v_add_f32_e32 v55, v62, v55
	v_add_f32_e32 v62, v44, v50
	v_mul_f32_e32 v44, 0xbf0a6770, v37
	v_fma_f32 v45, v16, s2, -v44
	v_add_f32_e32 v65, v65, v73
	v_add_f32_e32 v52, v45, v52
	v_mul_f32_e32 v45, 0xbf0a6770, v18
	v_fmac_f32_e32 v44, 0x3f575c64, v16
	v_add_f32_e32 v60, v60, v65
	v_add_f32_e32 v65, v44, v51
	v_fma_f32 v44, v17, s2, -v45
	v_add_f32_e32 v53, v44, v53
	v_mul_f32_e32 v44, 0xbe903f40, v37
	v_mov_b32_e32 v50, v45
	v_fma_f32 v45, v16, s16, -v44
	v_add_f32_e32 v57, v45, v57
	v_mul_f32_e32 v45, 0xbe903f40, v18
	v_fmac_f32_e32 v44, 0xbf75a155, v16
	v_add_f32_e32 v54, v44, v54
	v_fma_f32 v44, v17, s16, -v45
	v_mul_f32_e32 v37, 0x3f68dda4, v37
	v_add_f32_e32 v67, v67, v71
	v_add_f32_e32 v69, v69, v77
	v_fmac_f32_e32 v50, 0x3f575c64, v17
	v_add_f32_e32 v58, v44, v58
	v_fma_f32 v44, v16, s3, -v37
	v_mul_f32_e32 v18, 0x3f68dda4, v18
	v_fmac_f32_e32 v37, 0x3ed4b147, v16
	v_add_f32_e32 v71, v64, v66
	v_sub_f32_e32 v64, v64, v66
	v_add_f32_e32 v61, v61, v67
	v_add_f32_e32 v63, v63, v69
	;; [unrolled: 1-line block ×3, first 2 shown]
	v_mov_b32_e32 v50, v45
	v_add_f32_e32 v60, v44, v60
	v_mov_b32_e32 v44, v18
	v_add_f32_e32 v67, v37, v12
	v_fma_f32 v12, v17, s3, -v18
	v_add_f32_e32 v69, v19, v36
	v_sub_f32_e32 v70, v19, v36
	v_mul_f32_e32 v16, 0xbe903f40, v64
	v_fmac_f32_e32 v50, 0xbf75a155, v17
	v_fmac_f32_e32 v44, 0x3ed4b147, v17
	v_add_f32_e32 v68, v12, v13
	v_fma_f32 v12, v69, s16, -v16
	v_mul_f32_e32 v17, 0xbe903f40, v70
	v_fmac_f32_e32 v16, 0xbf75a155, v69
	v_add_f32_e32 v63, v44, v63
	v_add_f32_e32 v44, v16, v38
	v_fma_f32 v16, v71, s16, -v17
	v_mul_f32_e32 v18, 0x3f0a6770, v64
	v_add_f32_e32 v45, v16, v41
	v_fma_f32 v16, v69, s2, -v18
	v_mul_f32_e32 v19, 0x3f0a6770, v70
	v_fmac_f32_e32 v18, 0x3f575c64, v69
	v_add_f32_e32 v61, v50, v61
	v_add_f32_e32 v50, v18, v48
	v_fma_f32 v18, v71, s2, -v19
	v_mul_f32_e32 v36, 0xbf4178ce, v64
	v_add_f32_e32 v51, v18, v62
	v_fma_f32 v18, v69, s11, -v36
	v_mul_f32_e32 v37, 0xbf4178ce, v70
	v_fmac_f32_e32 v36, 0xbf27a4f4, v69
	v_mov_b32_e32 v13, v17
	v_add_f32_e32 v48, v36, v65
	v_fma_f32 v36, v71, s11, -v37
	v_mul_f32_e32 v38, 0x3f68dda4, v64
	v_add_f32_e32 v12, v12, v39
	v_fmac_f32_e32 v13, 0xbf75a155, v71
	v_add_f32_e32 v16, v16, v49
	v_add_f32_e32 v49, v36, v53
	v_fma_f32 v36, v69, s3, -v38
	v_mul_f32_e32 v39, 0x3f68dda4, v70
	v_fmac_f32_e32 v38, 0x3ed4b147, v69
	v_add_f32_e32 v13, v13, v40
	v_add_f32_e32 v72, v38, v54
	v_fma_f32 v38, v71, s3, -v39
	v_mul_f32_e32 v40, 0xbf7d64f0, v64
	v_add_f32_e32 v73, v38, v58
	v_fma_f32 v38, v69, s10, -v40
	v_mul_f32_e32 v41, 0xbf7d64f0, v70
	v_fmac_f32_e32 v40, 0xbe11bafb, v69
	v_mov_b32_e32 v17, v19
	v_mov_b32_e32 v19, v37
	;; [unrolled: 1-line block ×4, first 2 shown]
	v_add_f32_e32 v70, v40, v67
	v_fma_f32 v40, v71, s10, -v41
	v_fmac_f32_e32 v17, 0x3f575c64, v71
	v_fmac_f32_e32 v19, 0xbf27a4f4, v71
	;; [unrolled: 1-line block ×4, first 2 shown]
	v_add_f32_e32 v71, v40, v68
	v_mul_u32_u24_e32 v40, 0xbb, v43
	v_add_u32_sdwa v40, v40, v56 dst_sel:DWORD dst_unused:UNUSED_PAD src0_sel:DWORD src1_sel:BYTE_0
	v_add_lshl_u32 v93, v42, v40, 3
	v_add_f32_e32 v17, v17, v55
	v_add_f32_e32 v18, v18, v52
	;; [unrolled: 1-line block ×7, first 2 shown]
	ds_write2_b64 v93, v[14:15], v[12:13] offset1:17
	ds_write2_b64 v93, v[16:17], v[18:19] offset0:34 offset1:51
	ds_write2_b64 v93, v[36:37], v[38:39] offset0:68 offset1:85
	;; [unrolled: 1-line block ×4, first 2 shown]
	ds_write_b64 v93, v[44:45] offset:1360
	v_add_u32_e32 v12, 0xa00, v91
	s_waitcnt lgkmcnt(0)
	s_barrier
	ds_read2_b64 v[56:59], v12 offset0:54 offset1:241
	v_add_u32_e32 v12, 0x1600, v91
	ds_read2_b64 v[52:55], v91 offset1:187
	ds_read2_b64 v[60:63], v12 offset0:44 offset1:231
	s_movk_i32 s2, 0x55
	v_cmp_gt_u16_e64 s[2:3], s2, v88
	s_and_saveexec_b64 s[10:11], s[2:3]
	s_cbranch_execz .LBB0_9
; %bb.8:
	v_add_u32_e32 v12, 0x200, v91
	ds_read2_b64 v[70:73], v12 offset0:38 offset1:225
	v_add_u32_e32 v12, 0xe00, v91
	ds_read2_b64 v[48:51], v12 offset0:28 offset1:215
	;; [unrolled: 2-line block ×3, first 2 shown]
.LBB0_9:
	s_or_b64 exec, exec, s[10:11]
	v_mad_u64_u32 v[12:13], s[10:11], v88, 40, s[8:9]
	v_add_u32_e32 v14, 0x66, v88
	global_load_dwordx2 v[79:80], v[12:13], off offset:1392
	global_load_dwordx4 v[36:39], v[12:13], off offset:1376
	global_load_dwordx4 v[40:43], v[12:13], off offset:1360
	v_add_u32_e32 v12, 0xffffffab, v88
	v_cndmask_b32_e64 v12, v12, v14, s[2:3]
	v_mul_hi_i32_i24_e32 v13, 40, v12
	v_mul_i32_i24_e32 v12, 40, v12
	v_mov_b32_e32 v14, s9
	v_add_co_u32_e32 v64, vcc, s8, v12
	v_addc_co_u32_e32 v65, vcc, v14, v13, vcc
	global_load_dwordx4 v[12:15], v[64:65], off offset:1360
	global_load_dwordx4 v[16:19], v[64:65], off offset:1376
	global_load_dwordx2 v[77:78], v[64:65], off offset:1392
	s_waitcnt vmcnt(5) lgkmcnt(0)
	v_mul_f32_e32 v84, v62, v80
	s_waitcnt vmcnt(4)
	v_mul_f32_e32 v69, v58, v37
	s_waitcnt vmcnt(3)
	v_mul_f32_e32 v64, v55, v41
	v_mul_f32_e32 v65, v54, v41
	;; [unrolled: 1-line block ×5, first 2 shown]
	v_fmac_f32_e32 v69, v59, v36
	v_fmac_f32_e32 v84, v63, v79
	v_mul_f32_e32 v67, v56, v43
	v_mul_f32_e32 v81, v61, v39
	v_mul_f32_e32 v82, v60, v39
	v_fma_f32 v54, v54, v40, -v64
	v_fmac_f32_e32 v65, v55, v40
	v_fma_f32 v55, v56, v42, -v66
	v_fma_f32 v56, v58, v36, -v68
	v_fma_f32 v58, v62, v79, -v83
	v_add_f32_e32 v64, v69, v84
	s_waitcnt vmcnt(1)
	v_mul_f32_e32 v95, v51, v17
	v_mul_f32_e32 v96, v50, v17
	;; [unrolled: 1-line block ×3, first 2 shown]
	s_waitcnt vmcnt(0)
	v_mul_f32_e32 v99, v47, v78
	v_mul_f32_e32 v100, v46, v78
	v_fmac_f32_e32 v67, v57, v42
	v_fma_f32 v57, v60, v38, -v81
	v_fmac_f32_e32 v82, v61, v38
	v_add_f32_e32 v59, v56, v58
	v_add_f32_e32 v63, v65, v69
	v_fmac_f32_e32 v65, -0.5, v64
	v_mul_f32_e32 v92, v49, v15
	v_mul_f32_e32 v94, v48, v15
	;; [unrolled: 1-line block ×3, first 2 shown]
	v_fma_f32 v61, v50, v16, -v95
	v_fmac_f32_e32 v96, v51, v16
	v_fmac_f32_e32 v98, v45, v18
	v_fma_f32 v45, v46, v77, -v99
	v_fmac_f32_e32 v100, v47, v77
	v_add_f32_e32 v46, v52, v55
	v_add_f32_e32 v47, v55, v57
	;; [unrolled: 1-line block ×3, first 2 shown]
	v_sub_f32_e32 v51, v55, v57
	v_add_f32_e32 v55, v54, v56
	v_sub_f32_e32 v62, v69, v84
	v_sub_f32_e32 v56, v56, v58
	v_fmac_f32_e32 v54, -0.5, v59
	v_mov_b32_e32 v64, v65
	v_fma_f32 v60, v48, v14, -v92
	v_fmac_f32_e32 v94, v49, v14
	v_sub_f32_e32 v48, v67, v82
	v_add_f32_e32 v49, v53, v67
	v_fma_f32 v47, -0.5, v47, v52
	v_fma_f32 v67, -0.5, v50, v53
	v_mov_b32_e32 v53, v54
	v_fmac_f32_e32 v54, 0xbf5db3d7, v62
	v_fmac_f32_e32 v64, 0xbf5db3d7, v56
	v_add_f32_e32 v55, v55, v58
	v_mov_b32_e32 v58, v47
	v_fmac_f32_e32 v65, 0x3f5db3d7, v56
	v_fmac_f32_e32 v53, 0x3f5db3d7, v62
	v_mul_f32_e32 v56, 0x3f5db3d7, v64
	v_mul_f32_e32 v62, -0.5, v54
	v_fma_f32 v44, v44, v18, -v97
	v_fmac_f32_e32 v47, 0xbf5db3d7, v48
	v_fmac_f32_e32 v58, 0x3f5db3d7, v48
	v_fmac_f32_e32 v56, 0.5, v53
	v_fmac_f32_e32 v62, 0x3f5db3d7, v65
	v_mul_f32_e32 v68, 0xbf5db3d7, v53
	v_add_f32_e32 v46, v46, v57
	v_add_f32_e32 v50, v58, v56
	;; [unrolled: 1-line block ×3, first 2 shown]
	v_fmac_f32_e32 v68, 0.5, v64
	v_mul_f32_e32 v64, -0.5, v65
	v_sub_f32_e32 v56, v58, v56
	v_sub_f32_e32 v58, v47, v62
	v_add_f32_e32 v47, v60, v44
	v_add_f32_e32 v57, v49, v82
	;; [unrolled: 1-line block ×3, first 2 shown]
	v_mov_b32_e32 v63, v67
	v_fmac_f32_e32 v67, 0x3f5db3d7, v51
	v_add_f32_e32 v48, v46, v55
	v_fmac_f32_e32 v64, 0xbf5db3d7, v54
	v_sub_f32_e32 v54, v46, v55
	v_add_f32_e32 v46, v70, v60
	v_fmac_f32_e32 v70, -0.5, v47
	v_add_f32_e32 v49, v57, v59
	v_add_f32_e32 v53, v67, v64
	v_sub_f32_e32 v55, v57, v59
	v_sub_f32_e32 v59, v67, v64
	;; [unrolled: 1-line block ×3, first 2 shown]
	v_mov_b32_e32 v67, v70
	v_add_f32_e32 v62, v94, v98
	v_mul_f32_e32 v85, v73, v13
	v_fmac_f32_e32 v67, 0x3f5db3d7, v47
	v_fmac_f32_e32 v70, 0xbf5db3d7, v47
	v_add_f32_e32 v47, v71, v94
	v_fmac_f32_e32 v71, -0.5, v62
	v_fma_f32 v66, v72, v12, -v85
	v_add_f32_e32 v46, v46, v44
	v_sub_f32_e32 v44, v60, v44
	v_mov_b32_e32 v69, v71
	v_add_f32_e32 v60, v61, v45
	v_mul_f32_e32 v86, v72, v13
	v_fmac_f32_e32 v63, 0xbf5db3d7, v51
	v_fmac_f32_e32 v69, 0xbf5db3d7, v44
	;; [unrolled: 1-line block ×3, first 2 shown]
	v_add_f32_e32 v44, v66, v61
	v_fmac_f32_e32 v66, -0.5, v60
	v_fmac_f32_e32 v86, v73, v12
	v_add_f32_e32 v51, v63, v68
	v_sub_f32_e32 v57, v63, v68
	v_sub_f32_e32 v60, v96, v100
	v_mov_b32_e32 v63, v66
	v_fmac_f32_e32 v63, 0x3f5db3d7, v60
	v_fmac_f32_e32 v66, 0xbf5db3d7, v60
	v_add_f32_e32 v60, v86, v96
	v_add_f32_e32 v72, v60, v100
	;; [unrolled: 1-line block ×3, first 2 shown]
	v_fmac_f32_e32 v86, -0.5, v60
	v_add_f32_e32 v44, v44, v45
	v_sub_f32_e32 v45, v61, v45
	v_mov_b32_e32 v65, v86
	v_fmac_f32_e32 v65, 0xbf5db3d7, v45
	v_fmac_f32_e32 v86, 0x3f5db3d7, v45
	v_mul_f32_e32 v45, 0x3f5db3d7, v65
	v_mul_f32_e32 v73, -0.5, v66
	v_mul_f32_e32 v81, 0xbf5db3d7, v63
	v_mul_f32_e32 v82, -0.5, v86
	v_lshl_add_u32 v92, v88, 3, v89
	v_add_f32_e32 v47, v47, v98
	v_add_f32_e32 v60, v46, v44
	v_fmac_f32_e32 v45, 0.5, v63
	v_fmac_f32_e32 v73, 0x3f5db3d7, v86
	v_fmac_f32_e32 v81, 0.5, v65
	v_fmac_f32_e32 v82, 0xbf5db3d7, v66
	v_sub_f32_e32 v66, v46, v44
	v_add_u32_e32 v44, 0xa00, v92
	v_add_f32_e32 v62, v67, v45
	v_add_f32_e32 v64, v70, v73
	;; [unrolled: 1-line block ×5, first 2 shown]
	v_sub_f32_e32 v68, v67, v45
	v_sub_f32_e32 v70, v70, v73
	;; [unrolled: 1-line block ×5, first 2 shown]
	ds_write2_b64 v44, v[52:53], v[54:55] offset0:54 offset1:241
	v_add_u32_e32 v44, 0x1600, v92
	ds_write2_b64 v92, v[48:49], v[50:51] offset1:187
	ds_write2_b64 v44, v[56:57], v[58:59] offset0:44 offset1:231
	s_and_saveexec_b64 s[8:9], s[2:3]
	s_cbranch_execz .LBB0_11
; %bb.10:
	v_add_u32_e32 v44, 0x200, v92
	ds_write2_b64 v44, v[60:61], v[62:63] offset0:38 offset1:225
	v_add_u32_e32 v44, 0xe00, v92
	ds_write2_b64 v44, v[64:65], v[66:67] offset0:28 offset1:215
	;; [unrolled: 2-line block ×3, first 2 shown]
.LBB0_11:
	s_or_b64 exec, exec, s[8:9]
	s_waitcnt lgkmcnt(0)
	s_barrier
	s_and_saveexec_b64 s[8:9], s[0:1]
	s_cbranch_execz .LBB0_13
; %bb.12:
	v_mov_b32_e32 v44, s13
	v_add_co_u32_e32 v83, vcc, s12, v87
	v_addc_co_u32_e32 v84, vcc, 0, v44, vcc
	v_add_co_u32_e32 v44, vcc, 0x2310, v83
	v_addc_co_u32_e32 v45, vcc, 0, v84, vcc
	global_load_dwordx2 v[72:73], v[44:45], off offset:528
	global_load_dwordx2 v[85:86], v[44:45], off offset:1056
	;; [unrolled: 1-line block ×6, first 2 shown]
	v_add_co_u32_e32 v46, vcc, 0x2000, v83
	v_addc_co_u32_e32 v47, vcc, 0, v84, vcc
	s_movk_i32 s10, 0x3000
	v_add_co_u32_e32 v81, vcc, s10, v83
	v_addc_co_u32_e32 v82, vcc, 0, v84, vcc
	global_load_dwordx2 v[114:115], v[81:82], off offset:912
	global_load_dwordx2 v[116:117], v[46:47], off offset:784
	;; [unrolled: 1-line block ×9, first 2 shown]
	s_movk_i32 s10, 0x4000
	v_add_co_u32_e32 v98, vcc, s10, v83
	v_addc_co_u32_e32 v99, vcc, 0, v84, vcc
	global_load_dwordx2 v[132:133], v[98:99], off offset:512
	ds_read2_b64 v[44:47], v92 offset1:66
	ds_read2_b64 v[81:84], v92 offset0:132 offset1:198
	global_load_dwordx2 v[134:135], v[98:99], off offset:1040
	v_add_u32_e32 v138, 0x800, v92
	ds_read2_b64 v[94:97], v138 offset0:8 offset1:74
	v_add_u32_e32 v139, 0x1000, v92
	ds_read2_b64 v[98:101], v138 offset0:140 offset1:206
	ds_read2_b64 v[102:105], v139 offset0:16 offset1:82
	s_waitcnt vmcnt(15) lgkmcnt(3)
	v_mul_f32_e32 v140, v82, v86
	s_waitcnt vmcnt(14)
	v_mul_f32_e32 v141, v84, v107
	s_waitcnt vmcnt(13) lgkmcnt(2)
	v_mul_f32_e32 v142, v95, v109
	v_mul_f32_e32 v136, v47, v73
	;; [unrolled: 1-line block ×6, first 2 shown]
	s_waitcnt vmcnt(12)
	v_mul_f32_e32 v143, v97, v111
	v_mul_f32_e32 v109, v96, v111
	s_waitcnt vmcnt(11) lgkmcnt(1)
	v_mul_f32_e32 v144, v99, v113
	v_mul_f32_e32 v111, v98, v113
	s_waitcnt vmcnt(9)
	v_mul_f32_e32 v146, v45, v117
	v_mul_f32_e32 v113, v44, v117
	v_fma_f32 v136, v46, v72, -v136
	v_fmac_f32_e32 v137, v47, v72
	v_fma_f32 v72, v81, v85, -v140
	v_fmac_f32_e32 v73, v82, v85
	;; [unrolled: 2-line block ×6, first 2 shown]
	s_waitcnt vmcnt(8)
	v_mul_f32_e32 v47, v101, v119
	v_mul_f32_e32 v46, v100, v119
	v_fma_f32 v112, v44, v116, -v146
	v_fmac_f32_e32 v113, v45, v116
	ds_write2_b64 v92, v[72:73], v[85:86] offset0:132 offset1:198
	ds_write2_b64 v138, v[106:107], v[108:109] offset0:8 offset1:74
	v_fma_f32 v45, v100, v118, -v47
	v_fmac_f32_e32 v46, v101, v118
	ds_write2_b64 v92, v[112:113], v[136:137] offset1:66
	ds_write2_b64 v138, v[110:111], v[45:46] offset0:140 offset1:206
	ds_read2_b64 v[44:47], v139 offset0:148 offset1:214
	s_waitcnt lgkmcnt(5)
	v_mul_f32_e32 v145, v103, v115
	v_mul_f32_e32 v82, v102, v115
	s_waitcnt vmcnt(7)
	v_mul_f32_e32 v72, v105, v121
	v_mul_f32_e32 v73, v104, v121
	v_fma_f32 v81, v102, v114, -v145
	v_fmac_f32_e32 v82, v103, v114
	v_fma_f32 v72, v104, v120, -v72
	v_fmac_f32_e32 v73, v105, v120
	v_add_u32_e32 v85, 0x1800, v92
	ds_write2_b64 v139, v[81:82], v[72:73] offset0:16 offset1:82
	ds_read2_b64 v[81:84], v85 offset0:24 offset1:90
	s_waitcnt vmcnt(6) lgkmcnt(2)
	v_mul_f32_e32 v72, v45, v123
	v_mul_f32_e32 v73, v44, v123
	v_fma_f32 v72, v44, v122, -v72
	v_fmac_f32_e32 v73, v45, v122
	s_waitcnt vmcnt(5)
	v_mul_f32_e32 v44, v47, v125
	v_mul_f32_e32 v45, v46, v125
	v_fma_f32 v44, v46, v124, -v44
	v_fmac_f32_e32 v45, v47, v124
	ds_write2_b64 v139, v[72:73], v[44:45] offset0:148 offset1:214
	s_waitcnt vmcnt(4) lgkmcnt(1)
	v_mul_f32_e32 v44, v82, v127
	v_fma_f32 v72, v81, v126, -v44
	ds_read2_b64 v[44:47], v85 offset0:156 offset1:222
	v_mul_f32_e32 v73, v81, v127
	v_fmac_f32_e32 v73, v82, v126
	s_waitcnt vmcnt(3)
	v_mul_f32_e32 v81, v84, v129
	v_mul_f32_e32 v82, v83, v129
	v_fma_f32 v81, v83, v128, -v81
	v_fmac_f32_e32 v82, v84, v128
	ds_write2_b64 v85, v[72:73], v[81:82] offset0:24 offset1:90
	s_waitcnt vmcnt(2) lgkmcnt(1)
	v_mul_f32_e32 v72, v45, v131
	v_mul_f32_e32 v73, v44, v131
	v_fma_f32 v72, v44, v130, -v72
	v_fmac_f32_e32 v73, v45, v130
	ds_read_b64 v[44:45], v92 offset:8448
	s_waitcnt vmcnt(1)
	v_mul_f32_e32 v81, v47, v133
	v_mul_f32_e32 v82, v46, v133
	v_fma_f32 v81, v46, v132, -v81
	v_fmac_f32_e32 v82, v47, v132
	s_waitcnt vmcnt(0) lgkmcnt(0)
	v_mul_f32_e32 v46, v45, v135
	v_mul_f32_e32 v47, v44, v135
	v_fma_f32 v46, v44, v134, -v46
	v_fmac_f32_e32 v47, v45, v134
	ds_write2_b64 v85, v[72:73], v[81:82] offset0:156 offset1:222
	ds_write_b64 v92, v[46:47] offset:8448
.LBB0_13:
	s_or_b64 exec, exec, s[8:9]
	s_waitcnt lgkmcnt(0)
	s_barrier
	s_and_saveexec_b64 s[8:9], s[0:1]
	s_cbranch_execz .LBB0_15
; %bb.14:
	v_add_u32_e32 v0, 0x800, v92
	ds_read2_b64 v[48:51], v92 offset1:66
	ds_read2_b64 v[52:55], v92 offset0:132 offset1:198
	ds_read2_b64 v[56:59], v0 offset0:8 offset1:74
	;; [unrolled: 1-line block ×3, first 2 shown]
	v_add_u32_e32 v0, 0x1000, v92
	ds_read2_b64 v[64:67], v0 offset0:16 offset1:82
	ds_read2_b64 v[68:71], v0 offset0:148 offset1:214
	v_add_u32_e32 v0, 0x1800, v92
	ds_read2_b64 v[4:7], v0 offset0:24 offset1:90
	ds_read2_b64 v[0:3], v0 offset0:156 offset1:222
	ds_read_b64 v[75:76], v92 offset:8448
.LBB0_15:
	s_or_b64 exec, exec, s[8:9]
	s_waitcnt lgkmcnt(0)
	v_sub_f32_e32 v110, v51, v76
	v_add_f32_e32 v94, v75, v50
	v_add_f32_e32 v114, v76, v51
	s_mov_b32 s10, 0xbf1a4643
	v_mul_f32_e32 v81, 0xbf4c4adb, v110
	v_sub_f32_e32 v111, v53, v3
	v_mul_f32_e32 v82, 0xbf1a4643, v114
	v_fma_f32 v44, v94, s10, -v81
	v_add_f32_e32 v95, v2, v52
	v_add_f32_e32 v116, v3, v53
	s_mov_b32 s11, 0xbe8c1d8e
	v_mul_f32_e32 v83, 0x3f763a35, v111
	v_sub_f32_e32 v97, v50, v75
	v_add_f32_e32 v44, v48, v44
	v_mov_b32_e32 v45, v82
	v_mul_f32_e32 v85, 0xbe8c1d8e, v116
	v_fma_f32 v46, v95, s11, -v83
	v_fmac_f32_e32 v45, 0xbf4c4adb, v97
	v_sub_f32_e32 v99, v52, v2
	v_add_f32_e32 v44, v46, v44
	v_mov_b32_e32 v46, v85
	v_sub_f32_e32 v112, v55, v1
	v_add_f32_e32 v45, v49, v45
	v_fmac_f32_e32 v46, 0x3f763a35, v99
	v_add_f32_e32 v96, v0, v54
	v_add_f32_e32 v118, v1, v55
	s_mov_b32 s16, 0x3f6eb680
	v_mul_f32_e32 v84, 0xbeb8f4ab, v112
	v_add_f32_e32 v45, v46, v45
	v_mul_f32_e32 v128, 0x3f6eb680, v118
	v_fma_f32 v46, v96, s16, -v84
	v_sub_f32_e32 v101, v54, v0
	v_add_f32_e32 v44, v46, v44
	v_mov_b32_e32 v46, v128
	v_sub_f32_e32 v113, v57, v7
	v_fmac_f32_e32 v46, 0xbeb8f4ab, v101
	v_add_f32_e32 v98, v6, v56
	v_add_f32_e32 v122, v7, v57
	s_mov_b32 s17, 0xbf59a7d5
	v_mul_f32_e32 v86, 0xbf06c442, v113
	v_add_f32_e32 v45, v46, v45
	v_mul_f32_e32 v130, 0xbf59a7d5, v122
	v_fma_f32 v46, v98, s17, -v86
	v_sub_f32_e32 v103, v56, v6
	v_add_f32_e32 v44, v46, v44
	v_mov_b32_e32 v46, v130
	v_sub_f32_e32 v115, v59, v5
	;; [unrolled: 12-line block ×5, first 2 shown]
	v_fmac_f32_e32 v46, 0xbe3c28d5, v108
	v_add_f32_e32 v107, v66, v64
	v_add_f32_e32 v127, v67, v65
	s_mov_b32 s21, 0x3ee437d1
	v_mul_f32_e32 v135, 0x3f65296c, v123
	v_add_f32_e32 v45, v46, v45
	v_mul_f32_e32 v137, 0x3ee437d1, v127
	v_fma_f32 v46, v107, s21, -v135
	v_sub_f32_e32 v109, v64, v66
	v_add_f32_e32 v46, v46, v44
	v_mov_b32_e32 v44, v137
	v_fmac_f32_e32 v44, 0x3f65296c, v109
	v_add_f32_e32 v47, v44, v45
	s_barrier
	s_and_saveexec_b64 s[8:9], s[0:1]
	s_cbranch_execz .LBB0_17
; %bb.16:
	v_mul_f32_e32 v120, 0xbf7ba420, v114
	v_mov_b32_e32 v44, v120
	v_mul_f32_e32 v121, 0x3f6eb680, v116
	v_fmac_f32_e32 v44, 0x3e3c28d5, v97
	v_mov_b32_e32 v45, v121
	v_add_f32_e32 v44, v49, v44
	v_fmac_f32_e32 v45, 0xbeb8f4ab, v99
	v_mul_f32_e32 v154, 0xbf59a7d5, v118
	v_add_f32_e32 v44, v45, v44
	v_mov_b32_e32 v45, v154
	v_fmac_f32_e32 v45, 0x3f06c442, v101
	v_mul_f32_e32 v155, 0x3f3d2fb0, v122
	v_add_f32_e32 v44, v45, v44
	v_mov_b32_e32 v45, v155
	;; [unrolled: 4-line block ×7, first 2 shown]
	v_mul_f32_e32 v161, 0x3eb8f4ab, v111
	v_fmac_f32_e32 v44, 0xbf7ba420, v94
	v_mov_b32_e32 v72, v161
	v_mul_f32_e32 v138, 0xbf1a4643, v94
	v_add_f32_e32 v44, v48, v44
	v_fmac_f32_e32 v72, 0x3f6eb680, v95
	v_mul_f32_e32 v162, 0xbf06c442, v112
	v_mul_f32_e32 v140, 0xbe8c1d8e, v95
	v_add_f32_e32 v44, v72, v44
	v_mov_b32_e32 v72, v162
	v_add_f32_e32 v81, v138, v81
	v_mul_f32_e32 v142, 0x3f6eb680, v96
	v_fmac_f32_e32 v72, 0xbf59a7d5, v96
	v_mul_f32_e32 v163, 0x3f2c7751, v113
	v_add_f32_e32 v81, v48, v81
	v_add_f32_e32 v83, v140, v83
	v_mul_f32_e32 v139, 0xbf4c4adb, v97
	v_mul_f32_e32 v144, 0xbf59a7d5, v98
	v_add_f32_e32 v44, v72, v44
	v_mov_b32_e32 v72, v163
	v_add_f32_e32 v81, v83, v81
	v_add_f32_e32 v83, v142, v84
	v_mul_f32_e32 v141, 0x3f763a35, v99
	v_mul_f32_e32 v146, 0x3dbcf732, v100
	v_fmac_f32_e32 v72, 0x3f3d2fb0, v98
	v_mul_f32_e32 v164, 0xbf4c4adb, v115
	v_sub_f32_e32 v82, v82, v139
	v_add_f32_e32 v81, v83, v81
	v_add_f32_e32 v83, v144, v86
	v_mul_f32_e32 v143, 0xbeb8f4ab, v101
	v_mul_f32_e32 v148, 0x3f3d2fb0, v102
	v_add_f32_e32 v44, v72, v44
	v_mov_b32_e32 v72, v164
	v_add_f32_e32 v82, v49, v82
	v_sub_f32_e32 v85, v85, v141
	v_add_f32_e32 v81, v83, v81
	v_add_f32_e32 v83, v146, v129
	v_mul_f32_e32 v145, 0xbf06c442, v103
	v_mul_f32_e32 v150, 0xbf7ba420, v104
	v_fmac_f32_e32 v72, 0xbf1a4643, v100
	v_mul_f32_e32 v165, 0x3f65296c, v117
	v_add_f32_e32 v82, v85, v82
	v_sub_f32_e32 v85, v128, v143
	v_add_f32_e32 v81, v83, v81
	v_add_f32_e32 v83, v148, v131
	v_mul_f32_e32 v147, 0x3f7ee86f, v105
	v_mul_f32_e32 v152, 0x3ee437d1, v107
	v_add_f32_e32 v44, v72, v44
	v_mov_b32_e32 v72, v165
	v_add_f32_e32 v82, v85, v82
	v_sub_f32_e32 v85, v130, v145
	v_add_f32_e32 v81, v83, v81
	v_add_f32_e32 v83, v150, v133
	v_fmac_f32_e32 v72, 0x3ee437d1, v102
	v_mul_f32_e32 v166, 0xbf763a35, v119
	v_add_f32_e32 v82, v85, v82
	v_sub_f32_e32 v85, v132, v147
	v_add_f32_e32 v81, v83, v81
	v_add_f32_e32 v83, v152, v135
	v_mul_f32_e32 v132, 0xbe8c1d8e, v114
	v_add_f32_e32 v44, v72, v44
	v_mov_b32_e32 v72, v166
	v_add_f32_e32 v81, v83, v81
	v_mov_b32_e32 v83, v132
	v_mul_f32_e32 v133, 0xbf59a7d5, v116
	v_mul_f32_e32 v149, 0xbf2c7751, v106
	v_fmac_f32_e32 v72, 0xbe8c1d8e, v104
	v_mul_f32_e32 v167, 0x3f7ee86f, v123
	v_fmac_f32_e32 v83, 0x3f763a35, v97
	v_mov_b32_e32 v84, v133
	v_add_f32_e32 v44, v72, v44
	v_mov_b32_e32 v72, v167
	v_add_f32_e32 v82, v85, v82
	v_sub_f32_e32 v85, v134, v149
	v_add_f32_e32 v83, v49, v83
	v_fmac_f32_e32 v84, 0xbf06c442, v99
	v_mul_f32_e32 v134, 0x3f3d2fb0, v118
	v_fmac_f32_e32 v72, 0x3dbcf732, v107
	v_mul_f32_e32 v168, 0xbf59a7d5, v114
	v_add_f32_e32 v83, v84, v83
	v_mov_b32_e32 v84, v134
	v_add_f32_e32 v44, v72, v44
	v_mov_b32_e32 v72, v168
	v_mul_f32_e32 v169, 0x3ee437d1, v116
	v_fmac_f32_e32 v84, 0xbf2c7751, v101
	v_mul_f32_e32 v135, 0x3ee437d1, v122
	v_mul_f32_e32 v151, 0xbe3c28d5, v108
	v_fmac_f32_e32 v72, 0x3f06c442, v97
	v_mov_b32_e32 v73, v169
	v_add_f32_e32 v83, v84, v83
	v_mov_b32_e32 v84, v135
	v_add_f32_e32 v72, v49, v72
	v_fmac_f32_e32 v73, 0xbf65296c, v99
	v_mul_f32_e32 v170, 0x3dbcf732, v118
	v_add_f32_e32 v82, v85, v82
	v_sub_f32_e32 v85, v136, v151
	v_fmac_f32_e32 v84, 0x3f65296c, v103
	v_mul_f32_e32 v136, 0xbf7ba420, v124
	v_mul_f32_e32 v153, 0x3f65296c, v109
	v_add_f32_e32 v72, v73, v72
	v_mov_b32_e32 v73, v170
	v_add_f32_e32 v83, v84, v83
	v_mov_b32_e32 v84, v136
	v_fmac_f32_e32 v73, 0x3f7ee86f, v101
	v_mul_f32_e32 v171, 0xbf1a4643, v122
	v_add_f32_e32 v82, v85, v82
	v_sub_f32_e32 v85, v137, v153
	v_fmac_f32_e32 v84, 0x3e3c28d5, v105
	v_mul_f32_e32 v137, 0x3dbcf732, v125
	v_add_f32_e32 v72, v73, v72
	v_mov_b32_e32 v73, v171
	v_add_f32_e32 v83, v84, v83
	v_mov_b32_e32 v84, v137
	v_fmac_f32_e32 v73, 0xbf4c4adb, v103
	v_mul_f32_e32 v172, 0x3f6eb680, v124
	v_fmac_f32_e32 v84, 0xbf7ee86f, v106
	v_mul_f32_e32 v138, 0x3f6eb680, v126
	v_add_f32_e32 v72, v73, v72
	v_mov_b32_e32 v73, v172
	v_add_f32_e32 v83, v84, v83
	v_mov_b32_e32 v84, v138
	v_fmac_f32_e32 v73, 0x3eb8f4ab, v105
	v_mul_f32_e32 v173, 0xbf7ba420, v125
	v_fmac_f32_e32 v84, 0x3eb8f4ab, v108
	v_mul_f32_e32 v139, 0xbf1a4643, v127
	v_add_f32_e32 v72, v73, v72
	v_mov_b32_e32 v73, v173
	v_add_f32_e32 v83, v84, v83
	v_mov_b32_e32 v84, v139
	v_fmac_f32_e32 v73, 0x3e3c28d5, v106
	v_mul_f32_e32 v174, 0x3f3d2fb0, v126
	v_fmac_f32_e32 v84, 0x3f4c4adb, v109
	v_mul_f32_e32 v140, 0xbf763a35, v110
	v_add_f32_e32 v72, v73, v72
	v_mov_b32_e32 v73, v174
	v_add_f32_e32 v84, v84, v83
	v_mov_b32_e32 v83, v140
	v_mul_f32_e32 v141, 0x3f06c442, v111
	v_fmac_f32_e32 v73, 0xbf2c7751, v108
	v_mul_f32_e32 v175, 0xbe8c1d8e, v127
	v_add_f32_e32 v82, v85, v82
	v_fmac_f32_e32 v83, 0xbe8c1d8e, v94
	v_mov_b32_e32 v85, v141
	v_add_f32_e32 v72, v73, v72
	v_mov_b32_e32 v73, v175
	v_add_f32_e32 v83, v48, v83
	v_fmac_f32_e32 v85, 0xbf59a7d5, v95
	v_mul_f32_e32 v142, 0x3f2c7751, v112
	v_fmac_f32_e32 v73, 0x3f763a35, v109
	v_mul_f32_e32 v176, 0xbf06c442, v110
	v_add_f32_e32 v83, v85, v83
	v_mov_b32_e32 v85, v142
	v_add_f32_e32 v73, v73, v72
	v_mov_b32_e32 v72, v176
	v_mul_f32_e32 v177, 0x3f65296c, v111
	v_fmac_f32_e32 v85, 0x3f3d2fb0, v96
	v_mul_f32_e32 v143, 0xbf65296c, v113
	v_fmac_f32_e32 v72, 0xbf59a7d5, v94
	v_mov_b32_e32 v178, v177
	v_add_f32_e32 v83, v85, v83
	v_mov_b32_e32 v85, v143
	v_add_f32_e32 v72, v48, v72
	v_fmac_f32_e32 v178, 0x3ee437d1, v95
	v_fmac_f32_e32 v85, 0x3ee437d1, v98
	v_mul_f32_e32 v144, 0xbe3c28d5, v115
	v_add_f32_e32 v72, v178, v72
	v_mul_f32_e32 v178, 0xbf7ee86f, v112
	v_add_f32_e32 v83, v85, v83
	v_mov_b32_e32 v85, v144
	v_mov_b32_e32 v179, v178
	v_fmac_f32_e32 v85, 0xbf7ba420, v100
	v_mul_f32_e32 v145, 0x3f7ee86f, v117
	v_fmac_f32_e32 v179, 0x3dbcf732, v96
	v_add_f32_e32 v83, v85, v83
	v_mov_b32_e32 v85, v145
	v_add_f32_e32 v72, v179, v72
	v_mul_f32_e32 v179, 0x3f4c4adb, v113
	v_fmac_f32_e32 v85, 0x3dbcf732, v102
	v_mul_f32_e32 v146, 0xbeb8f4ab, v119
	v_mov_b32_e32 v180, v179
	v_add_f32_e32 v83, v85, v83
	v_mov_b32_e32 v85, v146
	v_fmac_f32_e32 v180, 0xbf1a4643, v98
	v_fmac_f32_e32 v85, 0x3f6eb680, v104
	v_mul_f32_e32 v147, 0xbf4c4adb, v123
	v_add_f32_e32 v72, v180, v72
	v_mul_f32_e32 v180, 0xbeb8f4ab, v115
	v_add_f32_e32 v83, v85, v83
	v_mov_b32_e32 v85, v147
	v_mov_b32_e32 v181, v180
	v_fmac_f32_e32 v85, 0xbf1a4643, v107
	v_mul_f32_e32 v148, 0x3dbcf732, v114
	v_fmac_f32_e32 v181, 0x3f6eb680, v100
	v_add_f32_e32 v83, v85, v83
	v_mov_b32_e32 v85, v148
	v_mul_f32_e32 v149, 0xbf7ba420, v116
	v_add_f32_e32 v72, v181, v72
	v_mul_f32_e32 v181, 0xbe3c28d5, v117
	v_fmac_f32_e32 v85, 0x3f7ee86f, v97
	v_mov_b32_e32 v86, v149
	v_mov_b32_e32 v182, v181
	v_add_f32_e32 v85, v49, v85
	v_fmac_f32_e32 v86, 0x3e3c28d5, v99
	v_mul_f32_e32 v150, 0xbe8c1d8e, v118
	v_add_f32_e32 v51, v51, v49
	v_fmac_f32_e32 v182, 0xbf7ba420, v102
	v_add_f32_e32 v85, v86, v85
	v_mov_b32_e32 v86, v150
	v_add_f32_e32 v51, v53, v51
	v_add_f32_e32 v72, v182, v72
	v_mul_f32_e32 v182, 0x3f2c7751, v119
	v_fmac_f32_e32 v86, 0xbf763a35, v101
	v_mul_f32_e32 v151, 0x3f6eb680, v122
	v_add_f32_e32 v51, v55, v51
	v_mov_b32_e32 v183, v182
	v_add_f32_e32 v85, v86, v85
	v_mov_b32_e32 v86, v151
	v_add_f32_e32 v51, v57, v51
	v_fmac_f32_e32 v183, 0x3f3d2fb0, v104
	v_fmac_f32_e32 v86, 0xbeb8f4ab, v103
	v_mul_f32_e32 v152, 0x3ee437d1, v124
	v_add_f32_e32 v51, v59, v51
	v_add_f32_e32 v72, v183, v72
	v_mul_f32_e32 v183, 0xbf763a35, v123
	v_add_f32_e32 v85, v86, v85
	v_mov_b32_e32 v86, v152
	v_add_f32_e32 v51, v61, v51
	v_mov_b32_e32 v184, v183
	v_fmac_f32_e32 v86, 0x3f65296c, v105
	v_mul_f32_e32 v153, 0xbf59a7d5, v125
	v_add_f32_e32 v51, v63, v51
	v_fmac_f32_e32 v184, 0xbe8c1d8e, v107
	v_add_f32_e32 v85, v86, v85
	v_mov_b32_e32 v86, v153
	v_add_f32_e32 v51, v65, v51
	v_add_f32_e32 v72, v184, v72
	v_fmac_f32_e32 v86, 0x3f06c442, v106
	v_mul_f32_e32 v184, 0xbf1a4643, v126
	v_add_f32_e32 v51, v67, v51
	v_add_f32_e32 v85, v86, v85
	v_mov_b32_e32 v86, v184
	v_add_f32_e32 v51, v69, v51
	v_fmac_f32_e32 v86, 0xbf4c4adb, v108
	v_mul_f32_e32 v185, 0x3f3d2fb0, v127
	v_add_f32_e32 v51, v71, v51
	v_add_f32_e32 v85, v86, v85
	v_mov_b32_e32 v86, v185
	;; [unrolled: 6-line block ×3, first 2 shown]
	v_mul_f32_e32 v187, 0xbe3c28d5, v111
	v_add_f32_e32 v1, v1, v5
	v_fmac_f32_e32 v85, 0x3dbcf732, v94
	v_mov_b32_e32 v128, v187
	v_add_f32_e32 v1, v3, v1
	v_add_f32_e32 v3, v50, v48
	;; [unrolled: 1-line block ×3, first 2 shown]
	v_fmac_f32_e32 v128, 0xbf7ba420, v95
	v_mul_f32_e32 v188, 0x3f763a35, v112
	v_add_f32_e32 v3, v52, v3
	v_add_f32_e32 v85, v128, v85
	v_mov_b32_e32 v128, v188
	v_add_f32_e32 v3, v54, v3
	v_fmac_f32_e32 v128, 0xbe8c1d8e, v96
	v_mul_f32_e32 v189, 0x3eb8f4ab, v113
	v_add_f32_e32 v3, v56, v3
	v_add_f32_e32 v85, v128, v85
	v_mov_b32_e32 v128, v189
	v_add_f32_e32 v3, v58, v3
	;; [unrolled: 6-line block ×6, first 2 shown]
	v_fmac_f32_e32 v128, 0x3f3d2fb0, v107
	v_mul_f32_e32 v194, 0x3ee437d1, v114
	v_add_f32_e32 v0, v0, v3
	v_fmac_f32_e32 v120, 0xbe3c28d5, v97
	v_add_f32_e32 v85, v128, v85
	v_mov_b32_e32 v128, v194
	v_mul_f32_e32 v195, 0xbf1a4643, v116
	v_add_f32_e32 v0, v2, v0
	v_add_f32_e32 v2, v49, v120
	v_fmac_f32_e32 v121, 0x3eb8f4ab, v99
	v_fmac_f32_e32 v128, 0x3f65296c, v97
	v_mov_b32_e32 v129, v195
	v_add_f32_e32 v2, v121, v2
	v_fmac_f32_e32 v154, 0xbf06c442, v101
	v_add_f32_e32 v128, v49, v128
	v_fmac_f32_e32 v129, 0x3f4c4adb, v99
	v_mul_f32_e32 v196, 0xbf7ba420, v118
	v_add_f32_e32 v2, v154, v2
	v_fmac_f32_e32 v155, 0x3f2c7751, v103
	v_add_f32_e32 v128, v129, v128
	v_mov_b32_e32 v129, v196
	v_add_f32_e32 v2, v155, v2
	v_fmac_f32_e32 v156, 0xbf4c4adb, v105
	v_fmac_f32_e32 v129, 0xbe3c28d5, v101
	v_mul_f32_e32 v197, 0xbe8c1d8e, v122
	v_add_f32_e32 v2, v156, v2
	v_fmac_f32_e32 v157, 0x3f65296c, v106
	v_add_f32_e32 v128, v129, v128
	v_mov_b32_e32 v129, v197
	v_add_f32_e32 v2, v157, v2
	v_fmac_f32_e32 v158, 0xbf763a35, v108
	v_fmac_f32_e32 v129, 0xbf763a35, v103
	v_mul_f32_e32 v198, 0x3f3d2fb0, v124
	v_add_f32_e32 v2, v158, v2
	v_fmac_f32_e32 v159, 0x3f7ee86f, v109
	v_add_f32_e32 v128, v129, v128
	v_mov_b32_e32 v129, v198
	v_add_f32_e32 v3, v159, v2
	v_fma_f32 v2, v94, s20, -v160
	v_fmac_f32_e32 v129, 0xbf2c7751, v105
	v_mul_f32_e32 v199, 0x3f6eb680, v125
	v_add_f32_e32 v2, v48, v2
	v_fma_f32 v4, v95, s16, -v161
	v_add_f32_e32 v128, v129, v128
	v_mov_b32_e32 v129, v199
	v_add_f32_e32 v2, v4, v2
	v_fma_f32 v4, v96, s17, -v162
	v_fmac_f32_e32 v129, 0x3eb8f4ab, v106
	v_mul_f32_e32 v200, 0x3dbcf732, v126
	v_add_f32_e32 v2, v4, v2
	v_fma_f32 v4, v98, s19, -v163
	v_add_f32_e32 v128, v129, v128
	v_mov_b32_e32 v129, v200
	v_add_f32_e32 v2, v4, v2
	v_fma_f32 v4, v100, s10, -v164
	v_fmac_f32_e32 v129, 0x3f7ee86f, v108
	v_mul_f32_e32 v201, 0xbf59a7d5, v127
	v_add_f32_e32 v2, v4, v2
	v_fma_f32 v4, v102, s21, -v165
	v_add_f32_e32 v128, v129, v128
	v_mov_b32_e32 v129, v201
	v_add_f32_e32 v2, v4, v2
	v_fma_f32 v4, v104, s11, -v166
	v_fmac_f32_e32 v129, 0x3f06c442, v109
	v_mul_f32_e32 v202, 0xbf65296c, v110
	v_add_f32_e32 v2, v4, v2
	v_fma_f32 v4, v107, s18, -v167
	v_fmac_f32_e32 v168, 0xbf06c442, v97
	v_add_f32_e32 v129, v129, v128
	v_mov_b32_e32 v128, v202
	v_mul_f32_e32 v203, 0xbf4c4adb, v111
	v_add_f32_e32 v2, v4, v2
	v_add_f32_e32 v4, v49, v168
	v_fmac_f32_e32 v169, 0x3f65296c, v99
	v_fmac_f32_e32 v128, 0x3ee437d1, v94
	v_mov_b32_e32 v130, v203
	v_add_f32_e32 v4, v169, v4
	v_fmac_f32_e32 v170, 0xbf7ee86f, v101
	v_add_f32_e32 v128, v48, v128
	v_fmac_f32_e32 v130, 0xbf1a4643, v95
	v_mul_f32_e32 v204, 0x3e3c28d5, v112
	v_add_f32_e32 v4, v170, v4
	v_fmac_f32_e32 v171, 0x3f4c4adb, v103
	v_add_f32_e32 v128, v130, v128
	v_mov_b32_e32 v130, v204
	v_add_f32_e32 v4, v171, v4
	v_fmac_f32_e32 v172, 0xbeb8f4ab, v105
	v_fmac_f32_e32 v130, 0xbf7ba420, v96
	v_mul_f32_e32 v205, 0x3f763a35, v113
	v_add_f32_e32 v4, v172, v4
	v_fmac_f32_e32 v173, 0xbe3c28d5, v106
	v_add_f32_e32 v128, v130, v128
	v_mov_b32_e32 v130, v205
	v_add_f32_e32 v4, v173, v4
	v_fmac_f32_e32 v174, 0x3f2c7751, v108
	v_fmac_f32_e32 v130, 0xbe8c1d8e, v98
	v_mul_f32_e32 v206, 0x3f2c7751, v115
	v_add_f32_e32 v4, v174, v4
	v_fmac_f32_e32 v175, 0xbf763a35, v109
	v_add_f32_e32 v128, v130, v128
	v_mov_b32_e32 v130, v206
	v_add_f32_e32 v5, v175, v4
	v_fma_f32 v4, v94, s17, -v176
	v_fmac_f32_e32 v130, 0x3f3d2fb0, v100
	v_mul_f32_e32 v207, 0xbeb8f4ab, v117
	v_add_f32_e32 v4, v48, v4
	v_fma_f32 v6, v95, s21, -v177
	v_add_f32_e32 v128, v130, v128
	v_mov_b32_e32 v130, v207
	v_add_f32_e32 v4, v6, v4
	v_fma_f32 v6, v96, s18, -v178
	v_fmac_f32_e32 v130, 0x3f6eb680, v102
	v_mul_f32_e32 v208, 0xbf7ee86f, v119
	v_add_f32_e32 v4, v6, v4
	v_fma_f32 v6, v98, s10, -v179
	v_add_f32_e32 v128, v130, v128
	v_mov_b32_e32 v130, v208
	v_add_f32_e32 v4, v6, v4
	v_fma_f32 v6, v100, s16, -v180
	v_fmac_f32_e32 v130, 0x3dbcf732, v104
	v_mul_f32_e32 v209, 0xbf06c442, v123
	v_add_f32_e32 v4, v6, v4
	v_fma_f32 v6, v102, s20, -v181
	v_add_f32_e32 v128, v130, v128
	v_mov_b32_e32 v130, v209
	v_add_f32_e32 v4, v6, v4
	v_fma_f32 v6, v104, s19, -v182
	v_fmac_f32_e32 v130, 0xbf59a7d5, v107
	v_mul_f32_e32 v210, 0x3f3d2fb0, v114
	v_add_f32_e32 v4, v6, v4
	v_fma_f32 v6, v107, s11, -v183
	;; [unrolled: 64-line block ×3, first 2 shown]
	v_fmac_f32_e32 v148, 0xbf7ee86f, v97
	v_add_f32_e32 v131, v131, v130
	v_mov_b32_e32 v130, v218
	v_mul_f32_e32 v219, 0xbf7ee86f, v111
	v_add_f32_e32 v6, v50, v6
	v_add_f32_e32 v50, v49, v148
	v_fmac_f32_e32 v149, 0xbe3c28d5, v99
	v_fmac_f32_e32 v130, 0x3f3d2fb0, v94
	v_mov_b32_e32 v220, v219
	v_add_f32_e32 v50, v149, v50
	v_fmac_f32_e32 v150, 0x3f763a35, v101
	v_add_f32_e32 v130, v48, v130
	v_fmac_f32_e32 v220, 0x3dbcf732, v95
	;; [unrolled: 2-line block ×3, first 2 shown]
	v_add_f32_e32 v130, v220, v130
	v_mul_f32_e32 v220, 0xbf4c4adb, v112
	v_add_f32_e32 v50, v151, v50
	v_fmac_f32_e32 v152, 0xbf65296c, v105
	v_mov_b32_e32 v221, v220
	v_add_f32_e32 v50, v152, v50
	v_fmac_f32_e32 v153, 0xbf06c442, v106
	v_fmac_f32_e32 v221, 0xbf1a4643, v96
	v_add_f32_e32 v50, v153, v50
	v_fmac_f32_e32 v184, 0x3f4c4adb, v108
	v_add_f32_e32 v130, v221, v130
	v_mul_f32_e32 v221, 0xbe3c28d5, v113
	v_add_f32_e32 v50, v184, v50
	v_fmac_f32_e32 v185, 0x3f2c7751, v109
	v_mov_b32_e32 v222, v221
	v_add_f32_e32 v51, v185, v50
	v_fma_f32 v50, v94, s18, -v186
	v_fmac_f32_e32 v222, 0xbf7ba420, v98
	v_add_f32_e32 v50, v48, v50
	v_fma_f32 v52, v95, s20, -v187
	v_add_f32_e32 v130, v222, v130
	v_mul_f32_e32 v222, 0x3f06c442, v115
	v_add_f32_e32 v50, v52, v50
	v_fma_f32 v52, v96, s11, -v188
	v_mov_b32_e32 v223, v222
	v_add_f32_e32 v50, v52, v50
	v_fma_f32 v52, v98, s16, -v189
	v_fmac_f32_e32 v223, 0xbf59a7d5, v100
	v_add_f32_e32 v50, v52, v50
	v_fma_f32 v52, v100, s21, -v190
	v_add_f32_e32 v130, v223, v130
	v_mul_f32_e32 v223, 0x3f763a35, v117
	v_add_f32_e32 v50, v52, v50
	v_fma_f32 v52, v102, s17, -v191
	v_mov_b32_e32 v224, v223
	v_add_f32_e32 v50, v52, v50
	v_fma_f32 v52, v104, s10, -v192
	v_fmac_f32_e32 v224, 0xbe8c1d8e, v102
	v_add_f32_e32 v50, v52, v50
	v_fma_f32 v52, v107, s19, -v193
	v_fmac_f32_e32 v194, 0xbf65296c, v97
	v_add_f32_e32 v130, v224, v130
	v_mul_f32_e32 v224, 0x3f65296c, v119
	v_add_f32_e32 v50, v52, v50
	v_add_f32_e32 v52, v49, v194
	v_fmac_f32_e32 v195, 0xbf4c4adb, v99
	v_mov_b32_e32 v225, v224
	v_add_f32_e32 v52, v195, v52
	v_fmac_f32_e32 v196, 0x3e3c28d5, v101
	v_fmac_f32_e32 v225, 0x3ee437d1, v104
	v_add_f32_e32 v52, v196, v52
	v_fmac_f32_e32 v197, 0x3f763a35, v103
	v_add_f32_e32 v130, v225, v130
	v_mul_f32_e32 v225, 0x3eb8f4ab, v123
	v_add_f32_e32 v52, v197, v52
	v_fmac_f32_e32 v198, 0x3f2c7751, v105
	v_mov_b32_e32 v226, v225
	v_add_f32_e32 v52, v198, v52
	v_fmac_f32_e32 v199, 0xbeb8f4ab, v106
	v_fmac_f32_e32 v226, 0x3f6eb680, v107
	v_add_f32_e32 v52, v199, v52
	v_fmac_f32_e32 v200, 0xbf7ee86f, v108
	v_add_f32_e32 v130, v226, v130
	v_mul_f32_e32 v226, 0x3f6eb680, v114
	v_add_f32_e32 v52, v200, v52
	v_fmac_f32_e32 v201, 0xbf06c442, v109
	v_mov_b32_e32 v114, v226
	v_mul_f32_e32 v116, 0x3f3d2fb0, v116
	v_add_f32_e32 v53, v201, v52
	v_fma_f32 v52, v94, s21, -v202
	v_fmac_f32_e32 v114, 0x3eb8f4ab, v97
	v_mov_b32_e32 v227, v116
	v_add_f32_e32 v52, v48, v52
	v_fma_f32 v54, v95, s10, -v203
	v_add_f32_e32 v114, v49, v114
	v_fmac_f32_e32 v227, 0x3f2c7751, v99
	v_mul_f32_e32 v118, 0x3ee437d1, v118
	v_add_f32_e32 v52, v54, v52
	v_fma_f32 v54, v96, s20, -v204
	v_add_f32_e32 v114, v227, v114
	v_mov_b32_e32 v227, v118
	v_add_f32_e32 v52, v54, v52
	v_fma_f32 v54, v98, s11, -v205
	v_fmac_f32_e32 v227, 0x3f65296c, v101
	v_mul_f32_e32 v122, 0x3dbcf732, v122
	v_add_f32_e32 v52, v54, v52
	v_fma_f32 v54, v100, s19, -v206
	v_add_f32_e32 v114, v227, v114
	v_mov_b32_e32 v227, v122
	v_add_f32_e32 v52, v54, v52
	v_fma_f32 v54, v102, s16, -v207
	v_fmac_f32_e32 v227, 0x3f7ee86f, v103
	v_mul_f32_e32 v124, 0xbe8c1d8e, v124
	v_add_f32_e32 v52, v54, v52
	v_fma_f32 v54, v104, s18, -v208
	v_add_f32_e32 v114, v227, v114
	v_mov_b32_e32 v227, v124
	v_add_f32_e32 v52, v54, v52
	v_fma_f32 v54, v107, s17, -v209
	v_fmac_f32_e32 v210, 0xbf2c7751, v97
	v_fmac_f32_e32 v227, 0x3f763a35, v105
	v_mul_f32_e32 v125, 0xbf1a4643, v125
	v_add_f32_e32 v52, v54, v52
	v_add_f32_e32 v54, v49, v210
	v_fmac_f32_e32 v211, 0xbf7ee86f, v99
	v_add_f32_e32 v114, v227, v114
	v_mov_b32_e32 v227, v125
	v_add_f32_e32 v54, v211, v54
	v_fmac_f32_e32 v212, 0xbf4c4adb, v101
	v_fmac_f32_e32 v227, 0x3f4c4adb, v106
	v_mul_f32_e32 v126, 0xbf59a7d5, v126
	v_add_f32_e32 v54, v212, v54
	v_fmac_f32_e32 v213, 0xbe3c28d5, v103
	v_add_f32_e32 v114, v227, v114
	v_mov_b32_e32 v227, v126
	v_add_f32_e32 v54, v213, v54
	v_fmac_f32_e32 v214, 0x3f06c442, v105
	v_fmac_f32_e32 v227, 0x3f06c442, v108
	v_mul_f32_e32 v127, 0xbf7ba420, v127
	;; [unrolled: 8-line block ×3, first 2 shown]
	v_add_f32_e32 v54, v216, v54
	v_fmac_f32_e32 v217, 0x3eb8f4ab, v109
	v_add_f32_e32 v114, v227, v114
	v_mov_b32_e32 v227, v110
	v_mul_f32_e32 v111, 0xbf2c7751, v111
	v_add_f32_e32 v55, v217, v54
	v_fma_f32 v54, v94, s19, -v218
	v_fmac_f32_e32 v227, 0x3f6eb680, v94
	v_mov_b32_e32 v228, v111
	v_add_f32_e32 v54, v48, v54
	v_fma_f32 v56, v95, s18, -v219
	v_add_f32_e32 v227, v48, v227
	v_fmac_f32_e32 v228, 0x3f3d2fb0, v95
	v_mul_f32_e32 v112, 0xbf65296c, v112
	v_add_f32_e32 v54, v56, v54
	v_fma_f32 v56, v96, s10, -v220
	v_add_f32_e32 v227, v228, v227
	v_mov_b32_e32 v228, v112
	v_add_f32_e32 v54, v56, v54
	v_fma_f32 v56, v98, s20, -v221
	v_fmac_f32_e32 v228, 0x3ee437d1, v96
	v_add_f32_e32 v54, v56, v54
	v_fma_f32 v56, v100, s17, -v222
	v_add_f32_e32 v227, v228, v227
	v_mul_f32_e32 v228, 0xbf7ee86f, v113
	v_add_f32_e32 v54, v56, v54
	v_fma_f32 v56, v102, s11, -v223
	v_mov_b32_e32 v113, v228
	v_add_f32_e32 v54, v56, v54
	v_fma_f32 v56, v104, s21, -v224
	v_fmac_f32_e32 v113, 0x3dbcf732, v98
	v_mul_f32_e32 v115, 0xbf763a35, v115
	v_add_f32_e32 v54, v56, v54
	v_fma_f32 v56, v107, s16, -v225
	v_add_f32_e32 v113, v113, v227
	v_mov_b32_e32 v227, v115
	v_add_f32_e32 v54, v56, v54
	v_fma_f32 v56, v94, s16, -v110
	v_fmac_f32_e32 v227, 0xbe8c1d8e, v100
	v_mul_f32_e32 v117, 0xbf4c4adb, v117
	v_fmac_f32_e32 v226, 0xbeb8f4ab, v97
	v_add_f32_e32 v48, v48, v56
	v_fma_f32 v56, v95, s19, -v111
	v_add_f32_e32 v113, v227, v113
	v_mov_b32_e32 v227, v117
	v_add_f32_e32 v49, v49, v226
	v_fmac_f32_e32 v116, 0xbf2c7751, v99
	v_add_f32_e32 v48, v56, v48
	v_fma_f32 v56, v96, s21, -v112
	v_fmac_f32_e32 v227, 0xbf1a4643, v102
	v_mul_f32_e32 v119, 0xbf06c442, v119
	v_add_f32_e32 v49, v116, v49
	v_fmac_f32_e32 v118, 0xbf65296c, v101
	v_add_f32_e32 v48, v56, v48
	v_fma_f32 v56, v98, s18, -v228
	v_add_f32_e32 v113, v227, v113
	v_mov_b32_e32 v227, v119
	v_add_f32_e32 v49, v118, v49
	v_fmac_f32_e32 v122, 0xbf7ee86f, v103
	v_add_f32_e32 v48, v56, v48
	v_fma_f32 v56, v100, s11, -v115
	v_fmac_f32_e32 v227, 0xbf59a7d5, v104
	v_mul_f32_e32 v123, 0xbe3c28d5, v123
	v_add_f32_e32 v49, v122, v49
	v_fmac_f32_e32 v124, 0xbf763a35, v105
	v_add_f32_e32 v48, v56, v48
	v_fma_f32 v56, v102, s10, -v117
	v_add_f32_e32 v113, v227, v113
	v_mov_b32_e32 v227, v123
	v_add_f32_e32 v49, v124, v49
	v_fmac_f32_e32 v125, 0xbf4c4adb, v106
	v_add_f32_e32 v48, v56, v48
	v_fma_f32 v56, v104, s17, -v119
	v_fmac_f32_e32 v227, 0xbf7ba420, v107
	v_add_f32_e32 v49, v125, v49
	v_fmac_f32_e32 v126, 0xbf06c442, v108
	v_add_f32_e32 v48, v56, v48
	v_fma_f32 v56, v107, s20, -v123
	v_add_f32_e32 v113, v227, v113
	v_add_f32_e32 v1, v76, v1
	;; [unrolled: 1-line block ×4, first 2 shown]
	v_fmac_f32_e32 v127, 0xbe3c28d5, v109
	v_add_f32_e32 v48, v56, v48
	v_lshl_add_u32 v56, v90, 3, v89
	v_add_f32_e32 v49, v127, v49
	ds_write2_b64 v56, v[0:1], v[113:114] offset1:1
	ds_write2_b64 v56, v[130:131], v[128:129] offset0:2 offset1:3
	ds_write2_b64 v56, v[85:86], v[83:84] offset0:4 offset1:5
	;; [unrolled: 1-line block ×7, first 2 shown]
	ds_write_b64 v56, v[48:49] offset:128
.LBB0_17:
	s_or_b64 exec, exec, s[8:9]
	s_waitcnt lgkmcnt(0)
	s_barrier
	ds_read2_b64 v[0:3], v91 offset1:102
	v_add_u32_e32 v4, 0x400, v91
	ds_read2_b64 v[4:7], v4 offset0:76 offset1:178
	v_add_u32_e32 v44, 0x800, v91
	ds_read2_b64 v[48:51], v44 offset0:152 offset1:254
	v_add_u32_e32 v44, 0x1000, v91
	s_waitcnt lgkmcnt(2)
	v_mul_f32_e32 v60, v29, v3
	ds_read2_b64 v[52:55], v44 offset0:100 offset1:202
	v_fmac_f32_e32 v60, v28, v2
	v_mul_f32_e32 v2, v29, v2
	v_fma_f32 v2, v28, v3, -v2
	s_waitcnt lgkmcnt(2)
	v_mul_f32_e32 v3, v31, v5
	v_add_u32_e32 v44, 0x1800, v91
	v_fmac_f32_e32 v3, v30, v4
	v_mul_f32_e32 v4, v31, v4
	ds_read2_b64 v[56:59], v44 offset0:48 offset1:150
	ds_read_b64 v[44:45], v91 offset:8160
	v_fma_f32 v4, v30, v5, -v4
	v_mul_f32_e32 v5, v25, v7
	v_fmac_f32_e32 v5, v24, v6
	v_mul_f32_e32 v6, v25, v6
	s_waitcnt lgkmcnt(3)
	v_mul_f32_e32 v25, v21, v51
	v_mul_f32_e32 v21, v21, v50
	v_fmac_f32_e32 v25, v20, v50
	v_fma_f32 v20, v20, v51, -v21
	s_waitcnt lgkmcnt(2)
	v_mul_f32_e32 v21, v23, v53
	v_mul_f32_e32 v23, v23, v52
	v_fma_f32 v6, v24, v7, -v6
	v_mul_f32_e32 v7, v27, v49
	v_mul_f32_e32 v24, v27, v48
	v_fmac_f32_e32 v21, v22, v52
	v_fma_f32 v22, v22, v53, -v23
	v_mul_f32_e32 v23, v9, v55
	v_mul_f32_e32 v9, v9, v54
	v_fmac_f32_e32 v7, v26, v48
	v_fma_f32 v24, v26, v49, -v24
	v_fmac_f32_e32 v23, v8, v54
	v_fma_f32 v26, v8, v55, -v9
	s_waitcnt lgkmcnt(1)
	v_mul_f32_e32 v27, v11, v57
	v_mul_f32_e32 v8, v11, v56
	v_fmac_f32_e32 v27, v10, v56
	v_fma_f32 v10, v10, v57, -v8
	v_mul_f32_e32 v8, v33, v58
	v_fma_f32 v28, v32, v59, -v8
	s_waitcnt lgkmcnt(0)
	v_mul_f32_e32 v8, v35, v44
	v_add_f32_e32 v9, v1, v2
	v_fma_f32 v30, v34, v45, -v8
	v_add_f32_e32 v8, v0, v60
	v_add_f32_e32 v9, v9, v4
	;; [unrolled: 1-line block ×12, first 2 shown]
	v_mul_f32_e32 v11, v33, v59
	v_add_f32_e32 v8, v8, v23
	v_add_f32_e32 v9, v9, v10
	v_fmac_f32_e32 v11, v32, v58
	v_mul_f32_e32 v29, v35, v45
	v_add_f32_e32 v8, v8, v27
	v_add_f32_e32 v9, v9, v28
	;; [unrolled: 1-line block ×3, first 2 shown]
	v_sub_f32_e32 v2, v2, v30
	v_fmac_f32_e32 v29, v34, v44
	v_add_f32_e32 v8, v8, v11
	v_add_f32_e32 v9, v9, v30
	v_mul_f32_e32 v30, 0xbf0a6770, v2
	v_mul_f32_e32 v34, 0x3f575c64, v32
	;; [unrolled: 1-line block ×10, first 2 shown]
	v_add_f32_e32 v8, v8, v29
	v_add_f32_e32 v31, v60, v29
	v_sub_f32_e32 v29, v60, v29
	s_mov_b32 s10, 0x3f575c64
	v_mov_b32_e32 v33, v30
	v_mov_b32_e32 v35, v34
	s_mov_b32 s8, 0x3ed4b147
	v_mov_b32_e32 v45, v44
	v_mov_b32_e32 v49, v48
	;; [unrolled: 3-line block ×5, first 2 shown]
	v_fmac_f32_e32 v33, 0x3f575c64, v31
	v_fmac_f32_e32 v35, 0x3f0a6770, v29
	v_fma_f32 v30, v31, s10, -v30
	v_fmac_f32_e32 v34, 0xbf0a6770, v29
	v_fmac_f32_e32 v45, 0x3ed4b147, v31
	v_fmac_f32_e32 v49, 0x3f68dda4, v29
	v_fma_f32 v44, v31, s8, -v44
	v_fmac_f32_e32 v48, 0xbf68dda4, v29
	;; [unrolled: 4-line block ×5, first 2 shown]
	v_add_f32_e32 v29, v4, v28
	v_sub_f32_e32 v4, v4, v28
	v_add_f32_e32 v33, v0, v33
	v_add_f32_e32 v30, v0, v30
	;; [unrolled: 1-line block ×11, first 2 shown]
	v_sub_f32_e32 v3, v3, v11
	v_mul_f32_e32 v11, 0xbf68dda4, v4
	v_mul_f32_e32 v31, 0x3ed4b147, v29
	v_add_f32_e32 v35, v1, v35
	v_add_f32_e32 v34, v1, v34
	;; [unrolled: 1-line block ×10, first 2 shown]
	v_mov_b32_e32 v28, v11
	v_mov_b32_e32 v32, v31
	v_fma_f32 v11, v2, s8, -v11
	v_fmac_f32_e32 v31, 0xbf68dda4, v3
	v_fmac_f32_e32 v28, 0x3ed4b147, v2
	v_add_f32_e32 v11, v11, v30
	v_add_f32_e32 v30, v31, v34
	v_mul_f32_e32 v31, 0xbf4178ce, v4
	v_add_f32_e32 v28, v28, v33
	v_mov_b32_e32 v33, v31
	v_fma_f32 v31, v2, s11, -v31
	v_fmac_f32_e32 v33, 0xbf27a4f4, v2
	v_add_f32_e32 v31, v31, v44
	v_mul_f32_e32 v44, 0x3e903f40, v4
	v_fmac_f32_e32 v32, 0x3f68dda4, v3
	v_add_f32_e32 v33, v33, v45
	v_mul_f32_e32 v34, 0xbf27a4f4, v29
	v_mov_b32_e32 v45, v44
	v_fma_f32 v44, v2, s16, -v44
	v_add_f32_e32 v32, v32, v35
	v_mov_b32_e32 v35, v34
	v_fmac_f32_e32 v34, 0xbf4178ce, v3
	v_fmac_f32_e32 v45, 0xbf75a155, v2
	v_add_f32_e32 v44, v44, v50
	v_mul_f32_e32 v50, 0x3f7d64f0, v4
	v_fmac_f32_e32 v35, 0x3f4178ce, v3
	v_add_f32_e32 v34, v34, v48
	v_add_f32_e32 v45, v45, v51
	v_mul_f32_e32 v48, 0xbf75a155, v29
	v_mov_b32_e32 v51, v50
	v_fma_f32 v50, v2, s9, -v50
	v_mul_f32_e32 v4, 0x3f0a6770, v4
	v_add_f32_e32 v35, v35, v49
	v_mov_b32_e32 v49, v48
	v_fmac_f32_e32 v48, 0x3e903f40, v3
	v_add_f32_e32 v50, v50, v54
	v_mov_b32_e32 v54, v4
	v_fmac_f32_e32 v49, 0xbe903f40, v3
	v_add_f32_e32 v48, v48, v52
	v_fmac_f32_e32 v51, 0xbe11bafb, v2
	v_mul_f32_e32 v52, 0xbe11bafb, v29
	v_fmac_f32_e32 v54, 0x3f575c64, v2
	v_mul_f32_e32 v29, 0x3f575c64, v29
	v_fma_f32 v2, v2, s10, -v4
	v_add_f32_e32 v49, v49, v53
	v_add_f32_e32 v51, v51, v55
	v_mov_b32_e32 v53, v52
	v_mov_b32_e32 v55, v29
	v_add_f32_e32 v0, v2, v0
	v_add_f32_e32 v2, v5, v27
	v_sub_f32_e32 v4, v5, v27
	v_sub_f32_e32 v5, v6, v10
	v_fmac_f32_e32 v53, 0xbf7d64f0, v3
	v_fmac_f32_e32 v52, 0x3f7d64f0, v3
	;; [unrolled: 1-line block ×4, first 2 shown]
	v_add_f32_e32 v3, v6, v10
	v_mul_f32_e32 v6, 0xbf7d64f0, v5
	v_mov_b32_e32 v10, v6
	v_fmac_f32_e32 v10, 0xbe11bafb, v2
	v_mul_f32_e32 v27, 0xbe11bafb, v3
	v_add_f32_e32 v10, v10, v28
	v_mov_b32_e32 v28, v27
	v_fma_f32 v6, v2, s9, -v6
	v_fmac_f32_e32 v27, 0xbf7d64f0, v4
	v_add_f32_e32 v6, v6, v11
	v_add_f32_e32 v11, v27, v30
	v_mul_f32_e32 v27, 0x3e903f40, v5
	v_add_f32_e32 v1, v29, v1
	v_mov_b32_e32 v29, v27
	v_fma_f32 v27, v2, s16, -v27
	v_fmac_f32_e32 v28, 0x3f7d64f0, v4
	v_fmac_f32_e32 v29, 0xbf75a155, v2
	v_mul_f32_e32 v30, 0xbf75a155, v3
	v_add_f32_e32 v27, v27, v31
	v_mul_f32_e32 v31, 0x3f68dda4, v5
	v_add_f32_e32 v28, v28, v32
	v_add_f32_e32 v29, v29, v33
	v_mov_b32_e32 v32, v30
	v_fmac_f32_e32 v30, 0x3e903f40, v4
	v_mov_b32_e32 v33, v31
	v_fma_f32 v31, v2, s8, -v31
	v_fmac_f32_e32 v32, 0xbe903f40, v4
	v_add_f32_e32 v30, v30, v34
	v_fmac_f32_e32 v33, 0x3ed4b147, v2
	v_mul_f32_e32 v34, 0x3ed4b147, v3
	v_add_f32_e32 v31, v31, v44
	v_mul_f32_e32 v44, 0xbf0a6770, v5
	v_add_f32_e32 v32, v32, v35
	v_add_f32_e32 v33, v33, v45
	v_mov_b32_e32 v35, v34
	v_fmac_f32_e32 v34, 0x3f68dda4, v4
	v_mov_b32_e32 v45, v44
	v_fma_f32 v44, v2, s10, -v44
	v_mul_f32_e32 v5, 0xbf4178ce, v5
	v_fmac_f32_e32 v35, 0xbf68dda4, v4
	v_add_f32_e32 v34, v34, v48
	v_fmac_f32_e32 v45, 0x3f575c64, v2
	v_mul_f32_e32 v48, 0x3f575c64, v3
	v_add_f32_e32 v44, v44, v50
	v_mov_b32_e32 v50, v5
	v_mul_f32_e32 v3, 0xbf27a4f4, v3
	v_add_f32_e32 v35, v35, v49
	v_add_f32_e32 v45, v45, v51
	v_mov_b32_e32 v49, v48
	v_fmac_f32_e32 v50, 0xbf27a4f4, v2
	v_mov_b32_e32 v51, v3
	v_fma_f32 v2, v2, s11, -v5
	v_sub_f32_e32 v5, v24, v26
	v_fmac_f32_e32 v49, 0x3f0a6770, v4
	v_fmac_f32_e32 v48, 0xbf0a6770, v4
	;; [unrolled: 1-line block ×3, first 2 shown]
	v_add_f32_e32 v0, v2, v0
	v_fmac_f32_e32 v3, 0xbf4178ce, v4
	v_add_f32_e32 v2, v7, v23
	v_sub_f32_e32 v4, v7, v23
	v_mul_f32_e32 v7, 0xbf4178ce, v5
	v_mov_b32_e32 v23, v7
	v_add_f32_e32 v1, v3, v1
	v_add_f32_e32 v3, v24, v26
	v_fmac_f32_e32 v23, 0xbf27a4f4, v2
	v_add_f32_e32 v10, v23, v10
	v_mul_f32_e32 v23, 0xbf27a4f4, v3
	v_mov_b32_e32 v24, v23
	v_fmac_f32_e32 v24, 0x3f4178ce, v4
	v_fma_f32 v7, v2, s11, -v7
	v_fmac_f32_e32 v23, 0xbf4178ce, v4
	v_mul_f32_e32 v26, 0xbe11bafb, v3
	v_add_f32_e32 v24, v24, v28
	v_add_f32_e32 v6, v7, v6
	;; [unrolled: 1-line block ×3, first 2 shown]
	v_mul_f32_e32 v11, 0x3f7d64f0, v5
	v_mov_b32_e32 v28, v26
	v_fmac_f32_e32 v26, 0x3f7d64f0, v4
	v_mov_b32_e32 v23, v11
	v_fmac_f32_e32 v28, 0xbf7d64f0, v4
	v_fma_f32 v11, v2, s9, -v11
	v_add_f32_e32 v26, v26, v30
	v_mul_f32_e32 v30, 0x3f575c64, v3
	v_fmac_f32_e32 v23, 0xbe11bafb, v2
	v_add_f32_e32 v28, v28, v32
	v_add_f32_e32 v27, v11, v27
	v_mul_f32_e32 v11, 0xbf0a6770, v5
	v_mov_b32_e32 v32, v30
	v_fmac_f32_e32 v30, 0xbf0a6770, v4
	v_add_f32_e32 v23, v23, v29
	v_mov_b32_e32 v29, v11
	v_fmac_f32_e32 v32, 0x3f0a6770, v4
	v_fma_f32 v11, v2, s10, -v11
	v_add_f32_e32 v30, v30, v34
	v_mul_f32_e32 v34, 0xbf75a155, v3
	v_add_f32_e32 v53, v53, v57
	v_fmac_f32_e32 v29, 0x3f575c64, v2
	v_add_f32_e32 v32, v32, v35
	v_add_f32_e32 v31, v11, v31
	v_mul_f32_e32 v11, 0xbe903f40, v5
	v_mov_b32_e32 v35, v34
	v_add_f32_e32 v49, v49, v53
	v_add_f32_e32 v29, v29, v33
	v_mov_b32_e32 v33, v11
	v_fmac_f32_e32 v35, 0x3e903f40, v4
	v_fma_f32 v11, v2, s16, -v11
	v_mul_f32_e32 v5, 0x3f68dda4, v5
	v_add_f32_e32 v52, v52, v56
	v_add_f32_e32 v54, v54, v58
	;; [unrolled: 1-line block ×4, first 2 shown]
	v_mov_b32_e32 v11, v5
	v_add_f32_e32 v48, v48, v52
	v_add_f32_e32 v50, v50, v54
	v_fmac_f32_e32 v34, 0xbe903f40, v4
	v_fmac_f32_e32 v11, 0x3ed4b147, v2
	v_mul_f32_e32 v3, 0x3ed4b147, v3
	v_add_f32_e32 v55, v55, v59
	v_fmac_f32_e32 v33, 0xbf75a155, v2
	v_add_f32_e32 v34, v34, v48
	v_add_f32_e32 v48, v11, v50
	v_mov_b32_e32 v11, v3
	v_fma_f32 v2, v2, s8, -v5
	v_sub_f32_e32 v54, v20, v22
	v_add_f32_e32 v51, v51, v55
	v_fmac_f32_e32 v11, 0xbf68dda4, v4
	v_add_f32_e32 v0, v2, v0
	v_fmac_f32_e32 v3, 0x3f68dda4, v4
	v_mul_f32_e32 v2, 0xbe903f40, v54
	v_add_f32_e32 v50, v11, v51
	v_add_f32_e32 v1, v3, v1
	;; [unrolled: 1-line block ×3, first 2 shown]
	v_mov_b32_e32 v3, v2
	v_add_f32_e32 v52, v20, v22
	v_fmac_f32_e32 v3, 0xbf75a155, v51
	v_sub_f32_e32 v53, v25, v21
	v_add_f32_e32 v10, v3, v10
	v_mul_f32_e32 v3, 0xbf75a155, v52
	v_fma_f32 v2, v51, s16, -v2
	v_mov_b32_e32 v4, v3
	v_add_f32_e32 v44, v2, v6
	v_fmac_f32_e32 v3, 0xbe903f40, v53
	v_mul_f32_e32 v2, 0x3f0a6770, v54
	v_add_f32_e32 v33, v33, v45
	v_add_f32_e32 v45, v3, v7
	v_mov_b32_e32 v3, v2
	v_fmac_f32_e32 v3, 0x3f575c64, v51
	v_fmac_f32_e32 v4, 0x3e903f40, v53
	v_add_f32_e32 v20, v3, v23
	v_mul_f32_e32 v3, 0x3f575c64, v52
	v_fma_f32 v2, v51, s10, -v2
	v_add_f32_e32 v11, v4, v24
	v_mov_b32_e32 v4, v3
	v_add_f32_e32 v6, v2, v27
	v_fmac_f32_e32 v3, 0x3f0a6770, v53
	v_mul_f32_e32 v2, 0xbf4178ce, v54
	v_add_f32_e32 v7, v3, v26
	v_mov_b32_e32 v3, v2
	v_fmac_f32_e32 v3, 0xbf27a4f4, v51
	v_fmac_f32_e32 v4, 0xbf0a6770, v53
	v_add_f32_e32 v22, v3, v29
	v_mul_f32_e32 v3, 0xbf27a4f4, v52
	v_add_f32_e32 v21, v4, v28
	v_mov_b32_e32 v4, v3
	v_fmac_f32_e32 v4, 0x3f4178ce, v53
	v_fma_f32 v2, v51, s11, -v2
	v_add_f32_e32 v23, v4, v32
	v_add_f32_e32 v4, v2, v31
	v_fmac_f32_e32 v3, 0xbf4178ce, v53
	v_mul_f32_e32 v2, 0x3f68dda4, v54
	v_add_f32_e32 v5, v3, v30
	v_mov_b32_e32 v3, v2
	v_fmac_f32_e32 v3, 0x3ed4b147, v51
	v_add_f32_e32 v24, v3, v33
	v_mul_f32_e32 v3, 0x3ed4b147, v52
	v_mul_f32_e32 v28, 0xbf7d64f0, v54
	;; [unrolled: 1-line block ×3, first 2 shown]
	v_mov_b32_e32 v25, v3
	v_mov_b32_e32 v26, v28
	;; [unrolled: 1-line block ×3, first 2 shown]
	v_fmac_f32_e32 v25, 0xbf68dda4, v53
	v_fma_f32 v2, v51, s8, -v2
	v_fmac_f32_e32 v3, 0x3f68dda4, v53
	v_fmac_f32_e32 v26, 0xbe11bafb, v51
	;; [unrolled: 1-line block ×3, first 2 shown]
	v_fma_f32 v28, v51, s9, -v28
	v_fmac_f32_e32 v29, 0xbf7d64f0, v53
	v_add_f32_e32 v25, v25, v35
	v_add_f32_e32 v2, v2, v49
	v_add_f32_e32 v3, v3, v34
	v_add_f32_e32 v26, v26, v48
	v_add_f32_e32 v27, v27, v50
	v_add_f32_e32 v0, v28, v0
	v_add_f32_e32 v1, v29, v1
	s_barrier
	ds_write2_b64 v93, v[8:9], v[10:11] offset1:17
	ds_write2_b64 v93, v[20:21], v[22:23] offset0:34 offset1:51
	ds_write2_b64 v93, v[24:25], v[26:27] offset0:68 offset1:85
	;; [unrolled: 1-line block ×4, first 2 shown]
	ds_write_b64 v93, v[44:45] offset:1360
	v_add_u32_e32 v20, 0xa00, v91
	s_waitcnt lgkmcnt(0)
	s_barrier
	ds_read2_b64 v[24:27], v20 offset0:54 offset1:241
	v_add_u32_e32 v20, 0x1600, v91
	ds_read2_b64 v[8:11], v91 offset1:187
	ds_read2_b64 v[20:23], v20 offset0:44 offset1:231
	s_and_saveexec_b64 s[8:9], s[2:3]
	s_cbranch_execz .LBB0_19
; %bb.18:
	v_add_u32_e32 v0, 0x200, v91
	v_add_u32_e32 v4, 0xe00, v91
	;; [unrolled: 1-line block ×3, first 2 shown]
	ds_read2_b64 v[0:3], v0 offset0:38 offset1:225
	ds_read2_b64 v[4:7], v4 offset0:28 offset1:215
	;; [unrolled: 1-line block ×3, first 2 shown]
.LBB0_19:
	s_or_b64 exec, exec, s[8:9]
	s_waitcnt lgkmcnt(1)
	v_mul_f32_e32 v28, v41, v11
	v_fmac_f32_e32 v28, v40, v10
	v_mul_f32_e32 v10, v41, v10
	v_fma_f32 v29, v40, v11, -v10
	v_mul_f32_e32 v10, v43, v25
	v_fmac_f32_e32 v10, v42, v24
	v_mul_f32_e32 v11, v43, v24
	v_mul_f32_e32 v24, v37, v27
	v_fma_f32 v11, v42, v25, -v11
	v_fmac_f32_e32 v24, v36, v26
	v_mul_f32_e32 v25, v37, v26
	s_waitcnt lgkmcnt(0)
	v_mul_f32_e32 v26, v39, v21
	v_fmac_f32_e32 v26, v38, v20
	v_mul_f32_e32 v20, v39, v20
	v_fma_f32 v25, v36, v27, -v25
	v_fma_f32 v20, v38, v21, -v20
	v_mul_f32_e32 v21, v80, v23
	v_add_f32_e32 v27, v10, v26
	v_fmac_f32_e32 v21, v79, v22
	v_mul_f32_e32 v22, v80, v22
	v_fma_f32 v27, -0.5, v27, v8
	v_fma_f32 v22, v79, v23, -v22
	v_add_f32_e32 v23, v8, v10
	v_sub_f32_e32 v8, v11, v20
	v_mov_b32_e32 v30, v27
	v_fmac_f32_e32 v30, 0xbf5db3d7, v8
	v_fmac_f32_e32 v27, 0x3f5db3d7, v8
	v_add_f32_e32 v8, v9, v11
	v_add_f32_e32 v31, v8, v20
	;; [unrolled: 1-line block ×3, first 2 shown]
	v_fma_f32 v32, -0.5, v8, v9
	v_sub_f32_e32 v8, v10, v26
	v_mov_b32_e32 v33, v32
	v_fmac_f32_e32 v33, 0x3f5db3d7, v8
	v_fmac_f32_e32 v32, 0xbf5db3d7, v8
	v_add_f32_e32 v8, v28, v24
	v_add_f32_e32 v23, v23, v26
	;; [unrolled: 1-line block ×4, first 2 shown]
	v_fmac_f32_e32 v28, -0.5, v8
	v_sub_f32_e32 v8, v25, v22
	v_mov_b32_e32 v11, v28
	v_fmac_f32_e32 v11, 0xbf5db3d7, v8
	v_fmac_f32_e32 v28, 0x3f5db3d7, v8
	v_add_f32_e32 v8, v29, v25
	v_add_f32_e32 v34, v8, v22
	;; [unrolled: 1-line block ×3, first 2 shown]
	v_fmac_f32_e32 v29, -0.5, v8
	v_sub_f32_e32 v8, v24, v21
	v_mov_b32_e32 v21, v29
	v_fmac_f32_e32 v21, 0x3f5db3d7, v8
	v_fmac_f32_e32 v29, 0xbf5db3d7, v8
	v_mul_f32_e32 v24, 0xbf5db3d7, v21
	v_mul_f32_e32 v35, 0.5, v21
	v_fmac_f32_e32 v24, 0.5, v11
	v_mul_f32_e32 v25, 0xbf5db3d7, v29
	v_fmac_f32_e32 v35, 0x3f5db3d7, v11
	v_mul_f32_e32 v29, -0.5, v29
	v_add_f32_e32 v8, v23, v26
	v_add_f32_e32 v10, v30, v24
	v_fmac_f32_e32 v25, -0.5, v28
	v_add_f32_e32 v9, v31, v34
	v_add_f32_e32 v11, v33, v35
	v_fmac_f32_e32 v29, 0x3f5db3d7, v28
	v_add_f32_e32 v20, v27, v25
	v_add_f32_e32 v21, v32, v29
	v_sub_f32_e32 v22, v23, v26
	v_sub_f32_e32 v23, v31, v34
	ds_write2_b64 v92, v[8:9], v[10:11] offset1:187
	v_add_u32_e32 v8, 0xa00, v92
	v_sub_f32_e32 v24, v30, v24
	v_sub_f32_e32 v26, v27, v25
	;; [unrolled: 1-line block ×4, first 2 shown]
	ds_write2_b64 v8, v[20:21], v[22:23] offset0:54 offset1:241
	v_add_u32_e32 v8, 0x1600, v92
	ds_write2_b64 v8, v[24:25], v[26:27] offset0:44 offset1:231
	s_and_saveexec_b64 s[8:9], s[2:3]
	s_cbranch_execz .LBB0_21
; %bb.20:
	v_mul_f32_e32 v9, v19, v44
	v_mul_f32_e32 v11, v19, v45
	v_fma_f32 v9, v18, v45, -v9
	v_fmac_f32_e32 v11, v18, v44
	v_mul_f32_e32 v18, v17, v7
	v_mul_f32_e32 v8, v15, v4
	v_fmac_f32_e32 v18, v16, v6
	v_mul_f32_e32 v19, v78, v47
	v_mul_f32_e32 v6, v17, v6
	v_fma_f32 v8, v14, v5, -v8
	v_mul_f32_e32 v5, v15, v5
	v_mul_f32_e32 v15, v13, v3
	v_fmac_f32_e32 v19, v77, v46
	v_fma_f32 v6, v16, v7, -v6
	v_mul_f32_e32 v7, v78, v46
	v_fmac_f32_e32 v15, v12, v2
	v_add_f32_e32 v20, v18, v19
	v_fma_f32 v7, v77, v47, -v7
	v_mul_f32_e32 v2, v13, v2
	v_add_f32_e32 v10, v9, v8
	v_fma_f32 v20, -0.5, v20, v15
	v_fma_f32 v3, v12, v3, -v2
	v_add_f32_e32 v2, v6, v7
	v_fma_f32 v10, -0.5, v10, v1
	v_sub_f32_e32 v16, v6, v7
	v_mov_b32_e32 v17, v20
	v_fma_f32 v12, -0.5, v2, v3
	v_add_f32_e32 v1, v8, v1
	v_fmac_f32_e32 v5, v14, v4
	v_fmac_f32_e32 v17, 0x3f5db3d7, v16
	v_sub_f32_e32 v13, v18, v19
	v_mov_b32_e32 v21, v12
	v_fmac_f32_e32 v20, 0xbf5db3d7, v16
	v_add_f32_e32 v16, v9, v1
	v_add_f32_e32 v1, v6, v3
	v_fmac_f32_e32 v21, 0xbf5db3d7, v13
	v_add_f32_e32 v7, v7, v1
	v_add_f32_e32 v1, v11, v5
	v_mul_f32_e32 v22, -0.5, v21
	v_fmac_f32_e32 v12, 0x3f5db3d7, v13
	v_fma_f32 v23, -0.5, v1, v0
	v_mul_f32_e32 v21, 0xbf5db3d7, v21
	v_sub_f32_e32 v4, v5, v11
	v_fmac_f32_e32 v22, 0x3f5db3d7, v17
	v_mul_f32_e32 v13, 0.5, v12
	v_sub_f32_e32 v3, v8, v9
	v_mov_b32_e32 v9, v23
	v_fmac_f32_e32 v21, -0.5, v17
	v_mul_f32_e32 v17, 0xbf5db3d7, v12
	v_add_f32_e32 v0, v5, v0
	v_add_f32_e32 v5, v18, v15
	v_mov_b32_e32 v14, v10
	v_fmac_f32_e32 v10, 0x3f5db3d7, v4
	v_fmac_f32_e32 v13, 0x3f5db3d7, v20
	;; [unrolled: 1-line block ×4, first 2 shown]
	v_fmac_f32_e32 v17, 0.5, v20
	v_add_f32_e32 v0, v11, v0
	v_add_f32_e32 v11, v19, v5
	v_fmac_f32_e32 v14, 0xbf5db3d7, v4
	v_sub_f32_e32 v4, v10, v13
	v_sub_f32_e32 v6, v16, v7
	;; [unrolled: 1-line block ×4, first 2 shown]
	v_add_f32_e32 v10, v10, v13
	v_add_f32_e32 v12, v16, v7
	;; [unrolled: 1-line block ×5, first 2 shown]
	v_add_u32_e32 v0, 0x200, v92
	v_add_f32_e32 v8, v14, v22
	ds_write2_b64 v0, v[11:12], v[9:10] offset0:38 offset1:225
	v_add_u32_e32 v0, 0xe00, v92
	v_sub_f32_e32 v2, v14, v22
	v_sub_f32_e32 v3, v23, v17
	ds_write2_b64 v0, v[7:8], v[5:6] offset0:28 offset1:215
	v_add_u32_e32 v0, 0x1a00, v92
	ds_write2_b64 v0, v[3:4], v[1:2] offset0:18 offset1:205
.LBB0_21:
	s_or_b64 exec, exec, s[8:9]
	s_waitcnt lgkmcnt(0)
	s_barrier
	s_and_b64 exec, exec, s[0:1]
	s_cbranch_execz .LBB0_23
; %bb.22:
	global_load_dwordx2 v[0:1], v87, s[12:13]
	ds_read_b64 v[4:5], v92
	v_mad_u64_u32 v[2:3], s[0:1], s6, v74, 0
	v_mad_u64_u32 v[6:7], s[0:1], s4, v88, 0
	s_waitcnt lgkmcnt(0)
	v_mad_u64_u32 v[8:9], s[2:3], s7, v74, v[3:4]
	s_mov_b32 s0, 0x4bc01d34
	s_mov_b32 s1, 0x3f4d347a
	v_mad_u64_u32 v[9:10], s[2:3], s5, v88, v[7:8]
	v_mov_b32_e32 v11, s15
	s_mul_i32 s3, s5, 0x210
	v_mov_b32_e32 v7, v9
	v_lshlrev_b64 v[6:7], 3, v[6:7]
	s_mul_hi_u32 s5, s4, 0x210
	s_mul_i32 s2, s4, 0x210
	s_add_i32 s3, s5, s3
	s_movk_i32 s4, 0x1000
	v_mov_b32_e32 v12, s3
	s_waitcnt vmcnt(0)
	v_mul_f32_e32 v3, v5, v1
	v_mul_f32_e32 v1, v4, v1
	v_fmac_f32_e32 v3, v4, v0
	v_fma_f32 v4, v0, v5, -v1
	v_cvt_f64_f32_e32 v[0:1], v3
	v_cvt_f64_f32_e32 v[4:5], v4
	v_mov_b32_e32 v3, v8
	v_lshlrev_b64 v[2:3], 3, v[2:3]
	v_mul_f64 v[0:1], v[0:1], s[0:1]
	v_mul_f64 v[4:5], v[4:5], s[0:1]
	v_add_co_u32_e32 v2, vcc, s14, v2
	v_addc_co_u32_e32 v3, vcc, v11, v3, vcc
	v_cvt_f32_f64_e32 v0, v[0:1]
	v_cvt_f32_f64_e32 v1, v[4:5]
	v_add_co_u32_e32 v4, vcc, v2, v6
	v_addc_co_u32_e32 v5, vcc, v3, v7, vcc
	global_store_dwordx2 v[4:5], v[0:1], off
	global_load_dwordx2 v[6:7], v87, s[12:13] offset:528
	ds_read2_b64 v[0:3], v92 offset0:66 offset1:132
	v_add_co_u32_e32 v4, vcc, s2, v4
	s_waitcnt vmcnt(0) lgkmcnt(0)
	v_mul_f32_e32 v8, v1, v7
	v_mul_f32_e32 v7, v0, v7
	v_fmac_f32_e32 v8, v0, v6
	v_fma_f32 v6, v6, v1, -v7
	v_cvt_f64_f32_e32 v[0:1], v8
	v_cvt_f64_f32_e32 v[6:7], v6
	v_mov_b32_e32 v8, s3
	v_addc_co_u32_e32 v5, vcc, v5, v8, vcc
	v_mul_f64 v[0:1], v[0:1], s[0:1]
	v_mul_f64 v[6:7], v[6:7], s[0:1]
	v_cvt_f32_f64_e32 v0, v[0:1]
	v_cvt_f32_f64_e32 v1, v[6:7]
	global_store_dwordx2 v[4:5], v[0:1], off
	global_load_dwordx2 v[0:1], v87, s[12:13] offset:1056
	v_add_co_u32_e32 v4, vcc, s2, v4
	s_waitcnt vmcnt(0)
	v_mul_f32_e32 v6, v3, v1
	v_mul_f32_e32 v1, v2, v1
	v_fmac_f32_e32 v6, v2, v0
	v_fma_f32 v2, v0, v3, -v1
	v_cvt_f64_f32_e32 v[0:1], v6
	v_cvt_f64_f32_e32 v[2:3], v2
	v_mov_b32_e32 v6, s3
	v_addc_co_u32_e32 v5, vcc, v5, v6, vcc
	v_mul_f64 v[0:1], v[0:1], s[0:1]
	v_mul_f64 v[2:3], v[2:3], s[0:1]
	v_cvt_f32_f64_e32 v0, v[0:1]
	v_cvt_f32_f64_e32 v1, v[2:3]
	global_store_dwordx2 v[4:5], v[0:1], off
	global_load_dwordx2 v[6:7], v87, s[12:13] offset:1584
	v_add_u32_e32 v0, 0x400, v92
	ds_read2_b64 v[0:3], v0 offset0:70 offset1:136
	v_add_co_u32_e32 v4, vcc, s2, v4
	s_waitcnt vmcnt(0) lgkmcnt(0)
	v_mul_f32_e32 v8, v1, v7
	v_mul_f32_e32 v7, v0, v7
	v_fmac_f32_e32 v8, v0, v6
	v_fma_f32 v6, v6, v1, -v7
	v_cvt_f64_f32_e32 v[0:1], v8
	v_cvt_f64_f32_e32 v[6:7], v6
	v_mov_b32_e32 v8, s3
	v_addc_co_u32_e32 v5, vcc, v5, v8, vcc
	v_mul_f64 v[0:1], v[0:1], s[0:1]
	v_mul_f64 v[6:7], v[6:7], s[0:1]
	v_cvt_f32_f64_e32 v0, v[0:1]
	v_cvt_f32_f64_e32 v1, v[6:7]
	global_store_dwordx2 v[4:5], v[0:1], off
	global_load_dwordx2 v[0:1], v87, s[12:13] offset:2112
	v_add_co_u32_e32 v4, vcc, s2, v4
	s_waitcnt vmcnt(0)
	v_mul_f32_e32 v6, v3, v1
	v_mul_f32_e32 v1, v2, v1
	v_fmac_f32_e32 v6, v2, v0
	v_fma_f32 v2, v0, v3, -v1
	v_cvt_f64_f32_e32 v[0:1], v6
	v_cvt_f64_f32_e32 v[2:3], v2
	v_mov_b32_e32 v6, s3
	v_addc_co_u32_e32 v5, vcc, v5, v6, vcc
	v_mul_f64 v[0:1], v[0:1], s[0:1]
	v_mul_f64 v[2:3], v[2:3], s[0:1]
	v_cvt_f32_f64_e32 v0, v[0:1]
	v_cvt_f32_f64_e32 v1, v[2:3]
	global_store_dwordx2 v[4:5], v[0:1], off
	global_load_dwordx2 v[6:7], v87, s[12:13] offset:2640
	v_add_u32_e32 v0, 0x800, v92
	ds_read2_b64 v[0:3], v0 offset0:74 offset1:140
	v_add_co_u32_e32 v4, vcc, s2, v4
	s_waitcnt vmcnt(0) lgkmcnt(0)
	v_mul_f32_e32 v8, v1, v7
	v_mul_f32_e32 v7, v0, v7
	v_fmac_f32_e32 v8, v0, v6
	v_fma_f32 v6, v6, v1, -v7
	v_cvt_f64_f32_e32 v[0:1], v8
	v_cvt_f64_f32_e32 v[6:7], v6
	v_mov_b32_e32 v8, s3
	v_addc_co_u32_e32 v5, vcc, v5, v8, vcc
	v_mul_f64 v[0:1], v[0:1], s[0:1]
	v_mul_f64 v[6:7], v[6:7], s[0:1]
	v_cvt_f32_f64_e32 v0, v[0:1]
	v_cvt_f32_f64_e32 v1, v[6:7]
	global_store_dwordx2 v[4:5], v[0:1], off
	global_load_dwordx2 v[0:1], v87, s[12:13] offset:3168
	v_add_co_u32_e32 v4, vcc, s2, v4
	s_waitcnt vmcnt(0)
	v_mul_f32_e32 v6, v3, v1
	v_mul_f32_e32 v1, v2, v1
	v_fmac_f32_e32 v6, v2, v0
	v_fma_f32 v2, v0, v3, -v1
	v_cvt_f64_f32_e32 v[0:1], v6
	v_cvt_f64_f32_e32 v[2:3], v2
	v_mov_b32_e32 v6, s3
	v_addc_co_u32_e32 v5, vcc, v5, v6, vcc
	v_mul_f64 v[0:1], v[0:1], s[0:1]
	v_mul_f64 v[2:3], v[2:3], s[0:1]
	v_add_co_u32_e32 v10, vcc, s12, v87
	v_cvt_f32_f64_e32 v0, v[0:1]
	v_cvt_f32_f64_e32 v1, v[2:3]
	global_store_dwordx2 v[4:5], v[0:1], off
	global_load_dwordx2 v[6:7], v87, s[12:13] offset:3696
	v_add_u32_e32 v0, 0xc00, v92
	ds_read2_b64 v[0:3], v0 offset0:78 offset1:144
	s_waitcnt vmcnt(0) lgkmcnt(0)
	v_mul_f32_e32 v8, v1, v7
	v_mul_f32_e32 v7, v0, v7
	v_fmac_f32_e32 v8, v0, v6
	v_fma_f32 v6, v6, v1, -v7
	v_cvt_f64_f32_e32 v[0:1], v8
	v_cvt_f64_f32_e32 v[6:7], v6
	v_mov_b32_e32 v8, s13
	v_addc_co_u32_e32 v11, vcc, 0, v8, vcc
	v_mul_f64 v[0:1], v[0:1], s[0:1]
	v_mul_f64 v[6:7], v[6:7], s[0:1]
	v_add_co_u32_e32 v8, vcc, s4, v10
	v_addc_co_u32_e32 v9, vcc, 0, v11, vcc
	v_add_co_u32_e32 v4, vcc, s2, v4
	v_cvt_f32_f64_e32 v0, v[0:1]
	v_cvt_f32_f64_e32 v1, v[6:7]
	v_addc_co_u32_e32 v5, vcc, v5, v12, vcc
	s_movk_i32 s4, 0x2000
	global_store_dwordx2 v[4:5], v[0:1], off
	global_load_dwordx2 v[0:1], v[8:9], off offset:128
	v_add_co_u32_e32 v4, vcc, s2, v4
	s_waitcnt vmcnt(0)
	v_mul_f32_e32 v6, v3, v1
	v_mul_f32_e32 v1, v2, v1
	v_fmac_f32_e32 v6, v2, v0
	v_fma_f32 v2, v0, v3, -v1
	v_cvt_f64_f32_e32 v[0:1], v6
	v_cvt_f64_f32_e32 v[2:3], v2
	v_mov_b32_e32 v6, s3
	v_addc_co_u32_e32 v5, vcc, v5, v6, vcc
	v_mul_f64 v[0:1], v[0:1], s[0:1]
	v_mul_f64 v[2:3], v[2:3], s[0:1]
	v_cvt_f32_f64_e32 v0, v[0:1]
	v_cvt_f32_f64_e32 v1, v[2:3]
	global_store_dwordx2 v[4:5], v[0:1], off
	global_load_dwordx2 v[6:7], v[8:9], off offset:656
	v_add_u32_e32 v0, 0x1000, v92
	ds_read2_b64 v[0:3], v0 offset0:82 offset1:148
	v_add_co_u32_e32 v4, vcc, s2, v4
	s_waitcnt vmcnt(0) lgkmcnt(0)
	v_mul_f32_e32 v12, v1, v7
	v_mul_f32_e32 v7, v0, v7
	v_fmac_f32_e32 v12, v0, v6
	v_fma_f32 v6, v6, v1, -v7
	v_cvt_f64_f32_e32 v[0:1], v12
	v_cvt_f64_f32_e32 v[6:7], v6
	v_mov_b32_e32 v12, s3
	v_addc_co_u32_e32 v5, vcc, v5, v12, vcc
	v_mul_f64 v[0:1], v[0:1], s[0:1]
	v_mul_f64 v[6:7], v[6:7], s[0:1]
	v_cvt_f32_f64_e32 v0, v[0:1]
	v_cvt_f32_f64_e32 v1, v[6:7]
	global_store_dwordx2 v[4:5], v[0:1], off
	global_load_dwordx2 v[0:1], v[8:9], off offset:1184
	v_add_co_u32_e32 v4, vcc, s2, v4
	s_waitcnt vmcnt(0)
	v_mul_f32_e32 v6, v3, v1
	v_mul_f32_e32 v1, v2, v1
	v_fmac_f32_e32 v6, v2, v0
	v_fma_f32 v2, v0, v3, -v1
	v_cvt_f64_f32_e32 v[0:1], v6
	v_cvt_f64_f32_e32 v[2:3], v2
	v_mov_b32_e32 v6, s3
	v_addc_co_u32_e32 v5, vcc, v5, v6, vcc
	v_mul_f64 v[0:1], v[0:1], s[0:1]
	v_mul_f64 v[2:3], v[2:3], s[0:1]
	v_cvt_f32_f64_e32 v0, v[0:1]
	v_cvt_f32_f64_e32 v1, v[2:3]
	global_store_dwordx2 v[4:5], v[0:1], off
	global_load_dwordx2 v[6:7], v[8:9], off offset:1712
	v_add_u32_e32 v0, 0x1400, v92
	ds_read2_b64 v[0:3], v0 offset0:86 offset1:152
	v_add_co_u32_e32 v4, vcc, s2, v4
	s_waitcnt vmcnt(0) lgkmcnt(0)
	v_mul_f32_e32 v12, v1, v7
	v_mul_f32_e32 v7, v0, v7
	v_fmac_f32_e32 v12, v0, v6
	v_fma_f32 v6, v6, v1, -v7
	v_cvt_f64_f32_e32 v[0:1], v12
	v_cvt_f64_f32_e32 v[6:7], v6
	v_mov_b32_e32 v12, s3
	v_addc_co_u32_e32 v5, vcc, v5, v12, vcc
	v_mul_f64 v[0:1], v[0:1], s[0:1]
	v_mul_f64 v[6:7], v[6:7], s[0:1]
	v_cvt_f32_f64_e32 v0, v[0:1]
	v_cvt_f32_f64_e32 v1, v[6:7]
	;; [unrolled: 34-line block ×3, first 2 shown]
	global_store_dwordx2 v[4:5], v[0:1], off
	global_load_dwordx2 v[0:1], v[8:9], off offset:3296
	v_add_co_u32_e32 v4, vcc, s2, v4
	s_waitcnt vmcnt(0)
	v_mul_f32_e32 v6, v3, v1
	v_mul_f32_e32 v1, v2, v1
	v_fmac_f32_e32 v6, v2, v0
	v_fma_f32 v2, v0, v3, -v1
	v_cvt_f64_f32_e32 v[0:1], v6
	v_cvt_f64_f32_e32 v[2:3], v2
	v_mov_b32_e32 v6, s3
	v_addc_co_u32_e32 v5, vcc, v5, v6, vcc
	v_mul_f64 v[0:1], v[0:1], s[0:1]
	v_mul_f64 v[2:3], v[2:3], s[0:1]
	v_cvt_f32_f64_e32 v0, v[0:1]
	v_cvt_f32_f64_e32 v1, v[2:3]
	global_store_dwordx2 v[4:5], v[0:1], off
	global_load_dwordx2 v[6:7], v[8:9], off offset:3824
	v_add_u32_e32 v0, 0x1c00, v92
	ds_read2_b64 v[0:3], v0 offset0:94 offset1:160
	s_waitcnt vmcnt(0) lgkmcnt(0)
	v_mul_f32_e32 v8, v1, v7
	v_mul_f32_e32 v7, v0, v7
	v_fmac_f32_e32 v8, v0, v6
	v_fma_f32 v6, v6, v1, -v7
	v_cvt_f64_f32_e32 v[0:1], v8
	v_cvt_f64_f32_e32 v[6:7], v6
	v_add_co_u32_e32 v8, vcc, s4, v10
	v_mul_f64 v[0:1], v[0:1], s[0:1]
	v_mul_f64 v[6:7], v[6:7], s[0:1]
	v_addc_co_u32_e32 v9, vcc, 0, v11, vcc
	v_add_co_u32_e32 v4, vcc, s2, v4
	v_addc_co_u32_e32 v5, vcc, v5, v12, vcc
	v_cvt_f32_f64_e32 v0, v[0:1]
	v_cvt_f32_f64_e32 v1, v[6:7]
	global_store_dwordx2 v[4:5], v[0:1], off
	global_load_dwordx2 v[0:1], v[8:9], off offset:256
	s_waitcnt vmcnt(0)
	v_mul_f32_e32 v6, v3, v1
	v_mul_f32_e32 v1, v2, v1
	v_fmac_f32_e32 v6, v2, v0
	v_fma_f32 v2, v0, v3, -v1
	v_cvt_f64_f32_e32 v[0:1], v6
	v_cvt_f64_f32_e32 v[2:3], v2
	v_mov_b32_e32 v6, s3
	v_mul_f64 v[0:1], v[0:1], s[0:1]
	v_mul_f64 v[2:3], v[2:3], s[0:1]
	v_cvt_f32_f64_e32 v0, v[0:1]
	v_cvt_f32_f64_e32 v1, v[2:3]
	v_add_co_u32_e32 v2, vcc, s2, v4
	v_addc_co_u32_e32 v3, vcc, v5, v6, vcc
	global_store_dwordx2 v[2:3], v[0:1], off
.LBB0_23:
	s_endpgm
	.section	.rodata,"a",@progbits
	.p2align	6, 0x0
	.amdhsa_kernel bluestein_single_fwd_len1122_dim1_sp_op_CI_CI
		.amdhsa_group_segment_fixed_size 17952
		.amdhsa_private_segment_fixed_size 0
		.amdhsa_kernarg_size 104
		.amdhsa_user_sgpr_count 6
		.amdhsa_user_sgpr_private_segment_buffer 1
		.amdhsa_user_sgpr_dispatch_ptr 0
		.amdhsa_user_sgpr_queue_ptr 0
		.amdhsa_user_sgpr_kernarg_segment_ptr 1
		.amdhsa_user_sgpr_dispatch_id 0
		.amdhsa_user_sgpr_flat_scratch_init 0
		.amdhsa_user_sgpr_private_segment_size 0
		.amdhsa_uses_dynamic_stack 0
		.amdhsa_system_sgpr_private_segment_wavefront_offset 0
		.amdhsa_system_sgpr_workgroup_id_x 1
		.amdhsa_system_sgpr_workgroup_id_y 0
		.amdhsa_system_sgpr_workgroup_id_z 0
		.amdhsa_system_sgpr_workgroup_info 0
		.amdhsa_system_vgpr_workitem_id 0
		.amdhsa_next_free_vgpr 255
		.amdhsa_next_free_sgpr 22
		.amdhsa_reserve_vcc 1
		.amdhsa_reserve_flat_scratch 0
		.amdhsa_float_round_mode_32 0
		.amdhsa_float_round_mode_16_64 0
		.amdhsa_float_denorm_mode_32 3
		.amdhsa_float_denorm_mode_16_64 3
		.amdhsa_dx10_clamp 1
		.amdhsa_ieee_mode 1
		.amdhsa_fp16_overflow 0
		.amdhsa_exception_fp_ieee_invalid_op 0
		.amdhsa_exception_fp_denorm_src 0
		.amdhsa_exception_fp_ieee_div_zero 0
		.amdhsa_exception_fp_ieee_overflow 0
		.amdhsa_exception_fp_ieee_underflow 0
		.amdhsa_exception_fp_ieee_inexact 0
		.amdhsa_exception_int_div_zero 0
	.end_amdhsa_kernel
	.text
.Lfunc_end0:
	.size	bluestein_single_fwd_len1122_dim1_sp_op_CI_CI, .Lfunc_end0-bluestein_single_fwd_len1122_dim1_sp_op_CI_CI
                                        ; -- End function
	.section	.AMDGPU.csdata,"",@progbits
; Kernel info:
; codeLenInByte = 21024
; NumSgprs: 26
; NumVgprs: 255
; ScratchSize: 0
; MemoryBound: 0
; FloatMode: 240
; IeeeMode: 1
; LDSByteSize: 17952 bytes/workgroup (compile time only)
; SGPRBlocks: 3
; VGPRBlocks: 63
; NumSGPRsForWavesPerEU: 26
; NumVGPRsForWavesPerEU: 255
; Occupancy: 1
; WaveLimiterHint : 1
; COMPUTE_PGM_RSRC2:SCRATCH_EN: 0
; COMPUTE_PGM_RSRC2:USER_SGPR: 6
; COMPUTE_PGM_RSRC2:TRAP_HANDLER: 0
; COMPUTE_PGM_RSRC2:TGID_X_EN: 1
; COMPUTE_PGM_RSRC2:TGID_Y_EN: 0
; COMPUTE_PGM_RSRC2:TGID_Z_EN: 0
; COMPUTE_PGM_RSRC2:TIDIG_COMP_CNT: 0
	.type	__hip_cuid_99f77d204c2be314,@object ; @__hip_cuid_99f77d204c2be314
	.section	.bss,"aw",@nobits
	.globl	__hip_cuid_99f77d204c2be314
__hip_cuid_99f77d204c2be314:
	.byte	0                               ; 0x0
	.size	__hip_cuid_99f77d204c2be314, 1

	.ident	"AMD clang version 19.0.0git (https://github.com/RadeonOpenCompute/llvm-project roc-6.4.0 25133 c7fe45cf4b819c5991fe208aaa96edf142730f1d)"
	.section	".note.GNU-stack","",@progbits
	.addrsig
	.addrsig_sym __hip_cuid_99f77d204c2be314
	.amdgpu_metadata
---
amdhsa.kernels:
  - .args:
      - .actual_access:  read_only
        .address_space:  global
        .offset:         0
        .size:           8
        .value_kind:     global_buffer
      - .actual_access:  read_only
        .address_space:  global
        .offset:         8
        .size:           8
        .value_kind:     global_buffer
      - .actual_access:  read_only
        .address_space:  global
        .offset:         16
        .size:           8
        .value_kind:     global_buffer
      - .actual_access:  read_only
        .address_space:  global
        .offset:         24
        .size:           8
        .value_kind:     global_buffer
      - .actual_access:  read_only
        .address_space:  global
        .offset:         32
        .size:           8
        .value_kind:     global_buffer
      - .offset:         40
        .size:           8
        .value_kind:     by_value
      - .address_space:  global
        .offset:         48
        .size:           8
        .value_kind:     global_buffer
      - .address_space:  global
        .offset:         56
        .size:           8
        .value_kind:     global_buffer
      - .address_space:  global
        .offset:         64
        .size:           8
        .value_kind:     global_buffer
      - .address_space:  global
        .offset:         72
        .size:           8
        .value_kind:     global_buffer
      - .offset:         80
        .size:           4
        .value_kind:     by_value
      - .address_space:  global
        .offset:         88
        .size:           8
        .value_kind:     global_buffer
      - .address_space:  global
        .offset:         96
        .size:           8
        .value_kind:     global_buffer
    .group_segment_fixed_size: 17952
    .kernarg_segment_align: 8
    .kernarg_segment_size: 104
    .language:       OpenCL C
    .language_version:
      - 2
      - 0
    .max_flat_workgroup_size: 204
    .name:           bluestein_single_fwd_len1122_dim1_sp_op_CI_CI
    .private_segment_fixed_size: 0
    .sgpr_count:     26
    .sgpr_spill_count: 0
    .symbol:         bluestein_single_fwd_len1122_dim1_sp_op_CI_CI.kd
    .uniform_work_group_size: 1
    .uses_dynamic_stack: false
    .vgpr_count:     255
    .vgpr_spill_count: 0
    .wavefront_size: 64
amdhsa.target:   amdgcn-amd-amdhsa--gfx906
amdhsa.version:
  - 1
  - 2
...

	.end_amdgpu_metadata
